;; amdgpu-corpus repo=ROCm/aiter kind=harvested arch=n/a opt=n/a

/root/src/amdgpu-assembly/repos/ROCm__aiter/hsa/gfx942/fmha_v3_bwd/bwd_hd128_bf16_a16_rtna_pddv.co:	file format elf64-amdgpu

Disassembly of section .text:

0000000000003e00 <_ZN5aiter33fmha_bwd_hd128_bf16_a16_rtna_pddvE>:
	s_and_b32 s1, s1, 0xffff                                   // 000000003E00: 8601FF01 0000FFFF
	s_load_dwordx2 s[32:33], s[0:1], 0x0                       // 000000003E08: C0060800 00000000
	s_load_dwordx2 s[36:37], s[0:1], 0x10                      // 000000003E10: C0060900 00000010
	s_load_dwordx2 s[40:41], s[0:1], 0x20                      // 000000003E18: C0060A00 00000020
	s_load_dwordx2 s[8:9], s[0:1], 0x30                        // 000000003E20: C0060200 00000030
	s_load_dwordx2 s[12:13], s[0:1], 0x40                      // 000000003E28: C0060300 00000040
	s_load_dwordx2 s[16:17], s[0:1], 0x50                      // 000000003E30: C0060400 00000050
	s_load_dwordx2 s[20:21], s[0:1], 0x60                      // 000000003E38: C0060500 00000060
	s_load_dwordx2 s[24:25], s[0:1], 0x70                      // 000000003E40: C0060600 00000070
	s_load_dwordx2 s[28:29], s[0:1], 0x80                      // 000000003E48: C0060700 00000080
	s_load_dword s48, s[0:1], 0x90                             // 000000003E50: C0020C00 00000090
	s_load_dword s49, s[0:1], 0xa0                             // 000000003E58: C0020C40 000000A0
	s_load_dword s50, s[0:1], 0xb0                             // 000000003E60: C0020C80 000000B0
	s_load_dword s51, s[0:1], 0xc0                             // 000000003E68: C0020CC0 000000C0
	s_load_dword s52, s[0:1], 0xd0                             // 000000003E70: C0020D00 000000D0
	s_load_dword s53, s[0:1], 0xe0                             // 000000003E78: C0020D40 000000E0
	s_load_dword s70, s[0:1], 0xf0                             // 000000003E80: C0021180 000000F0
	s_load_dword s44, s[0:1], 0x100                            // 000000003E88: C0020B00 00000100
	s_load_dword s5, s[0:1], 0x110                             // 000000003E90: C0020140 00000110
	s_load_dword s6, s[0:1], 0x120                             // 000000003E98: C0020180 00000120
	s_load_dword s7, s[0:1], 0x130                             // 000000003EA0: C00201C0 00000130
	s_load_dword s46, s[0:1], 0x140                            // 000000003EA8: C0020B80 00000140
	s_load_dword s96, s[0:1], 0x180                            // 000000003EB0: C0021800 00000180
	s_load_dword s95, s[0:1], 0x240                            // 000000003EB8: C00217C0 00000240
	s_load_dword s96, s[0:1], 0x180                            // 000000003EC0: C0021800 00000180
	s_load_dword s95, s[0:1], 0x240                            // 000000003EC8: C00217C0 00000240
	s_load_dword s94, s[0:1], 0x160                            // 000000003ED0: C0021780 00000160
	v_lshrrev_b32_e32 v1, 10, v0                               // 000000003ED8: 2002008A
	v_lshrrev_b32_e32 v2, 10, v1                               // 000000003EDC: 2004028A
	v_and_b32_e32 v2, 0x3ff, v2                                // 000000003EE0: 260404FF 000003FF
	v_and_b32_e32 v1, 0x3ff, v1                                // 000000003EE8: 260202FF 000003FF
	v_and_b32_e32 v0, 0x3ff, v0                                // 000000003EF0: 260000FF 000003FF
	v_lshrrev_b32_e32 v3, 6, v0                                // 000000003EF8: 20060086
	v_and_b32_e32 v0, 63, v0                                   // 000000003EFC: 260000BF
	s_mov_b32 s2, s2                                           // 000000003F00: BE820002
	s_mov_b32 s3, s3                                           // 000000003F04: BE830003
	s_mov_b32 s4, s4                                           // 000000003F08: BE840004
	v_readfirstlane_b32 s47, v3                                // 000000003F0C: 7E5E0503
	s_waitcnt lgkmcnt(0)                                       // 000000003F10: BF8CC07F
	s_mov_b32 s10, 0x80000000                                  // 000000003F14: BE8A00FF 80000000
	s_mov_b32 s14, 0x80000000                                  // 000000003F1C: BE8E00FF 80000000
	s_mov_b32 s18, 0x80000000                                  // 000000003F24: BE9200FF 80000000
	s_mov_b32 s22, 0x80000000                                  // 000000003F2C: BE9600FF 80000000
	s_mov_b32 s26, 0x80000000                                  // 000000003F34: BE9A00FF 80000000
	s_mov_b32 s30, 0x80000000                                  // 000000003F3C: BE9E00FF 80000000
	s_mov_b32 s38, 0x80000000                                  // 000000003F44: BEA600FF 80000000
	s_mov_b32 s42, 0x80000000                                  // 000000003F4C: BEAA00FF 80000000
	s_mov_b32 s11, 0x20000                                     // 000000003F54: BE8B00FF 00020000
	s_mov_b32 s15, 0x20000                                     // 000000003F5C: BE8F00FF 00020000
	s_mov_b32 s19, 0x20000                                     // 000000003F64: BE9300FF 00020000
	s_mov_b32 s23, 0x20000                                     // 000000003F6C: BE9700FF 00020000
	s_mov_b32 s27, 0x20000                                     // 000000003F74: BE9B00FF 00020000
	s_mov_b32 s31, 0x20000                                     // 000000003F7C: BE9F00FF 00020000
	s_mov_b32 s39, 0x20000                                     // 000000003F84: BEA700FF 00020000
	s_mov_b32 s43, 0x20000                                     // 000000003F8C: BEAB00FF 00020000
	s_and_b32 s9, s9, 0xffff                                   // 000000003F94: 8609FF09 0000FFFF
	s_and_b32 s13, s13, 0xffff                                 // 000000003F9C: 860DFF0D 0000FFFF
	s_and_b32 s17, s17, 0xffff                                 // 000000003FA4: 8611FF11 0000FFFF
	s_and_b32 s21, s21, 0xffff                                 // 000000003FAC: 8615FF15 0000FFFF
	s_and_b32 s25, s25, 0xffff                                 // 000000003FB4: 8619FF19 0000FFFF
	s_and_b32 s29, s29, 0xffff                                 // 000000003FBC: 861DFF1D 0000FFFF
	s_and_b32 s37, s37, 0xffff                                 // 000000003FC4: 8625FF25 0000FFFF
	s_and_b32 s41, s41, 0xffff                                 // 000000003FCC: 8629FF29 0000FFFF
	s_or_b32 s9, s9, 0x40000                                   // 000000003FD4: 8709FF09 00040000
	s_or_b32 s13, s13, 0x40000                                 // 000000003FDC: 870DFF0D 00040000
	s_or_b32 s17, s17, 0x40000                                 // 000000003FE4: 8711FF11 00040000
	s_or_b32 s21, s21, 0x40000                                 // 000000003FEC: 8715FF15 00040000
	s_or_b32 s25, s25, 0x40000                                 // 000000003FF4: 8719FF19 00040000
	s_or_b32 s29, s29, 0x40000                                 // 000000003FFC: 871DFF1D 00040000
	s_or_b32 s37, s37, 0x40000                                 // 000000004004: 8725FF25 00040000
	s_or_b32 s41, s41, 0x40000                                 // 00000000400C: 8729FF29 00040000
	v_accvgpr_write_b32 a255, 0                                // 000000004014: D3D940FF 18000080
	v_mov_b32_e32 v251, 0                                      // 00000000401C: 7FF60280
	s_mov_b32 s78, s8                                          // 000000004020: BECE0008
	s_mov_b32 s80, s12                                         // 000000004024: BED0000C
	s_mov_b32 s82, s16                                         // 000000004028: BED20010
	s_mov_b32 s84, s20                                         // 00000000402C: BED40014
	s_mov_b32 s79, s9                                          // 000000004030: BECF0009
	s_mov_b32 s81, s13                                         // 000000004034: BED1000D
	s_mov_b32 s83, s17                                         // 000000004038: BED30011
	s_mov_b32 s85, s21                                         // 00000000403C: BED50015
	s_mov_b32 s71, s3                                          // 000000004040: BEC70003
	v_cvt_f32_u32_e32 v28, s44                                 // 000000004044: 7E380C2C
	s_sub_i32 s60, 0, s44                                      // 000000004048: 81BC2C80
	v_rcp_iflag_f32_e32 v28, v28                               // 00000000404C: 7E38471C
	s_nop 0                                                    // 000000004050: BF800000
	v_mul_f32_e32 v28, 0x4f7ffffe, v28                         // 000000004054: 0A3838FF 4F7FFFFE
	v_cvt_u32_f32_e32 v28, v28                                 // 00000000405C: 7E380F1C
	v_mul_lo_u32 v29, s60, v28                                 // 000000004060: D285001D 0002383C
	v_mul_hi_u32 v29, v28, v29                                 // 000000004068: D286001D 00023B1C
	v_add_u32_e32 v28, v28, v29                                // 000000004070: 68383B1C
	v_mul_hi_u32 v28, s71, v28                                 // 000000004074: D286001C 00023847
	v_mul_lo_u32 v29, v28, s44                                 // 00000000407C: D285001D 0000591C
	v_sub_u32_e32 v31, s71, v29                                // 000000004084: 6A3E3A47
	v_add_u32_e32 v30, 1, v28                                  // 000000004088: 683C3881
	v_cmp_le_u32_e32 vcc, s44, v31                             // 00000000408C: 7D963E2C
	v_subrev_u32_e32 v29, s44, v31                             // 000000004090: 6C3A3E2C
	s_nop 0                                                    // 000000004094: BF800000
	v_cndmask_b32_e32 v28, v28, v30, vcc                       // 000000004098: 00383D1C
	v_cndmask_b32_e32 v31, v31, v29, vcc                       // 00000000409C: 003E3B1F
	v_add_u32_e32 v29, 1, v28                                  // 0000000040A0: 683A3881
	v_cmp_le_u32_e32 vcc, s44, v31                             // 0000000040A4: 7D963E2C
	s_nop 1                                                    // 0000000040A8: BF800001
	v_cndmask_b32_e32 v31, v28, v29, vcc                       // 0000000040AC: 003E3B1C
	s_nop 3                                                    // 0000000040B0: BF800003
	v_readfirstlane_b32 s45, v31                               // 0000000040B4: 7E5A051F
	s_nop 3                                                    // 0000000040B8: BF800003
	v_mov_b32_e32 v28, s48                                     // 0000000040BC: 7E380230
	v_mul_f32_e32 v28, s49, v28                                // 0000000040C0: 0A383831
	s_mov_b32 s66, 0                                           // 0000000040C4: BEC20080
	s_mov_b32 s58, s50                                         // 0000000040C8: BEBA0032
	s_mov_b32 s59, 0                                           // 0000000040CC: BEBB0080
	s_mov_b32 s63, 0x5040100                                   // 0000000040D0: BEBF00FF 05040100
	s_mov_b32 s64, 0x7060302                                   // 0000000040D8: BEC000FF 07060302
	v_readfirstlane_b32 s57, v28                               // 0000000040E0: 7E72051C
	v_mov_b32_e32 v30, 0x3020706                               // 0000000040E4: 7E3C02FF 03020706
	v_mov_b32_e32 v28, s63                                     // 0000000040EC: 7E38023F
	v_and_b32_e32 v29, 1, v0                                   // 0000000040F0: 263A0081
	v_cmp_eq_u32_e32 vcc, 1, v29                               // 0000000040F4: 7D943A81
	s_mul_i32 s67, 16, s70                                     // 0000000040F8: 92434690
	v_cndmask_b32_e32 v17, v28, v30, vcc                       // 0000000040FC: 00223D1C
	v_mov_b32_e32 v249, 0xffff0000                             // 000000004100: 7FF202FF FFFF0000
	v_mov_b32_e32 v250, 0x7fff0000                             // 000000004108: 7FF402FF 7FFF0000
	v_mov_b32_e32 v251, 0x7fff                                 // 000000004110: 7FF602FF 00007FFF
	s_cmp_lt_u32 s47, 2                                        // 000000004118: BF0A822F
	s_cselect_b32 s24, s24, s28                                // 00000000411C: 85181C18
	s_cselect_b32 s25, s25, s29                                // 000000004120: 85191D19
	s_cselect_b32 s26, s26, s30                                // 000000004124: 851A1E1A
	s_cselect_b32 s27, s27, s31                                // 000000004128: 851B1F1B
	s_lshr_b32 s60, s47, 1                                     // 00000000412C: 8F3C812F
	s_lshl_b32 s60, s60, 8                                     // 000000004130: 8E3C883C
	s_add_u32 s76, 0xc600, s60                                 // 000000004134: 804C3CFF 0000C600
	s_add_u32 s77, 0x200, s76                                  // 00000000413C: 804D4CFF 00000200
	s_mov_b32 m0, s76                                          // 000000004144: BEFC004C
	v_mov_b32_e32 v151, 0xff800000                             // 000000004148: 7F2E02FF FF800000
	s_mul_i32 s68, 16, s70                                     // 000000004150: 92444690
	s_mov_b32 s69, 16                                          // 000000004154: BEC50090
	s_mul_i32 s60, s2, s51                                     // 000000004158: 923C3302
	s_mul_i32 s61, s45, s5                                     // 00000000415C: 923D052D
	s_mul_i32 s62, s4, s6                                      // 000000004160: 923E0604
	s_add_u32 s54, s60, s61                                    // 000000004164: 80363D3C
	s_add_u32 s54, s54, s62                                    // 000000004168: 80363E36
	s_mul_i32 s61, s3, s52                                     // 00000000416C: 923D3403
	s_mul_i32 s62, s4, s53                                     // 000000004170: 923E3504
	s_add_u32 s55, s61, s62                                    // 000000004174: 80373E3D
	s_mov_b32 s56, s55                                         // 000000004178: BEB80037
	s_mul_i32 s62, s4, s96                                     // 00000000417C: 923E6004
	s_mul_i32 s62, s62, s95                                    // 000000004180: 923E5F3E
	s_mul_i32 s61, s3, s95                                     // 000000004184: 923D5F03
	s_add_u32 s65, s61, s62                                    // 000000004188: 80413E3D
	s_mov_b32 s71, s7                                          // 00000000418C: BEC70007
	v_lshrrev_b32_e32 v28, 4, v0                               // 000000004190: 20380084
	v_and_b32_e32 v29, 1, v28                                  // 000000004194: 263A3881
	v_lshlrev_b32_e32 v29, 1, v29                              // 000000004198: 243A3A81
	v_mul_i32_i24_e32 v29, s71, v29                            // 00000000419C: 0C3A3A47
	v_and_b32_e32 v30, 2, v28                                  // 0000000041A0: 263C3882
	v_lshlrev_b32_e32 v30, 5, v30                              // 0000000041A4: 243C3C85
	v_add_u32_e32 v29, v30, v29                                // 0000000041A8: 683A3B1E
	v_and_b32_e32 v28, 15, v0                                  // 0000000041AC: 2638008F
	v_lshlrev_b32_e32 v28, 2, v28                              // 0000000041B0: 24383882
	v_add_u32_e32 v1, v28, v29                                 // 0000000041B4: 68023B1C
	s_and_b32 s60, 1, s47                                      // 0000000041B8: 863C2F81
	s_mul_i32 s60, s60, s71                                    // 0000000041BC: 923C473C
	s_mul_i32 s60, s60, 8                                      // 0000000041C0: 923C883C
	s_lshr_b32 s61, s47, 1                                     // 0000000041C4: 8F3D812F
	s_mul_i32 s61, s61, 0x80                                   // 0000000041C8: 923DFF3D 00000080
	s_add_u32 s60, s60, s61                                    // 0000000041D0: 803C3D3C
	v_add_u32_e32 v1, s60, v1                                  // 0000000041D4: 6802023C
	v_add_u32_e32 v2, s71, v1                                  // 0000000041D8: 68040247
	s_mul_i32 s60, 4, s71                                      // 0000000041DC: 923C4784
	v_add_u32_e32 v3, s60, v1                                  // 0000000041E0: 6806023C
	v_add_u32_e32 v4, s60, v2                                  // 0000000041E4: 6808043C
	v_lshrrev_b32_e32 v1, 2, v1                                // 0000000041E8: 20020282
	v_lshrrev_b32_e32 v2, 2, v2                                // 0000000041EC: 20040482
	v_lshrrev_b32_e32 v3, 2, v3                                // 0000000041F0: 20060682
	v_lshrrev_b32_e32 v4, 2, v4                                // 0000000041F4: 20080882
	s_add_u32 s12, s54, s80                                    // 0000000041F8: 800C5036
	s_addc_u32 s13, 0, s81                                     // 0000000041FC: 820D5180
	s_add_u32 s16, s54, s82                                    // 000000004200: 80105236
	s_addc_u32 s17, 0, s83                                     // 000000004204: 82115380
	s_add_u32 s8, s55, s78                                     // 000000004208: 80084E37
	s_addc_u32 s9, 0, s79                                      // 00000000420C: 82094F80
	s_add_u32 s20, s56, s84                                    // 000000004210: 80145438
	s_addc_u32 s21, 0, s85                                     // 000000004214: 82155580
	v_and_b32_e32 v11, 15, v0                                  // 000000004218: 2616008F
	v_lshlrev_b32_e32 v11, 2, v11                              // 00000000421C: 24161682
	v_add_u32_e32 v11, s65, v11                                // 000000004220: 68161641
	v_lshrrev_b32_e32 v11, 2, v11                              // 000000004224: 20161682
	v_lshrrev_b32_e32 v28, 4, v0                               // 000000004228: 20380084
	v_mul_i32_i24_e32 v5, s46, v28                             // 00000000422C: 0C0A382E
	v_lshrrev_b32_e32 v5, 2, v5                                // 000000004230: 200A0A82
	v_and_b32_e32 v28, 15, v0                                  // 000000004234: 2638008F
	v_lshlrev_b32_e32 v29, 2, v28                              // 000000004238: 243A3882
	v_add_u32_e32 v5, v29, v5                                  // 00000000423C: 680A0B1D
	s_mul_i32 s60, 16, s46                                     // 000000004240: 923C2E90
	s_mul_i32 s60, s47, s60                                    // 000000004244: 923C3C2F
	v_lshlrev_b32_e32 v5, 2, v5                                // 000000004248: 240A0A82
	v_add_u32_e32 v5, s60, v5                                  // 00000000424C: 680A0A3C
	s_mul_i32 s60, 0xc0, s46                                   // 000000004250: 923C2EFF 000000C0
	s_mul_i32 s60, s2, s60                                     // 000000004258: 923C3C02
	s_mul_i32 s61, s3, s5                                      // 00000000425C: 923D0503
	s_mul_i32 s62, s4, s6                                      // 000000004260: 923E0604
	s_mul_i32 s62, s62, s44                                    // 000000004264: 923E2C3E
	s_add_u32 s60, s60, s61                                    // 000000004268: 803C3D3C
	s_add_u32 s60, s60, s62                                    // 00000000426C: 803C3E3C
	v_add_u32_e32 v5, s60, v5                                  // 000000004270: 680A0A3C
	v_lshrrev_b32_e32 v5, 2, v5                                // 000000004274: 200A0A82
	v_mov_b32_e32 v10, v5                                      // 000000004278: 7E140305
	v_lshrrev_b32_e32 v28, 5, v0                               // 00000000427C: 20380085
	v_mul_i32_i24_e32 v6, s70, v28                             // 000000004280: 0C0C3846
	v_lshrrev_b32_e32 v6, 2, v6                                // 000000004284: 200C0C82
	v_and_b32_e32 v28, 31, v0                                  // 000000004288: 2638009F
	v_add_u32_e32 v6, v28, v6                                  // 00000000428C: 680C0D1C
	s_mul_i32 s60, s47, s70                                    // 000000004290: 923C462F
	v_add_u32_e32 v6, s60, v6                                  // 000000004294: 680C0C3C
	v_lshlrev_b32_e32 v6, 2, v6                                // 000000004298: 240C0C82
	s_mul_i32 s60, 2, s70                                      // 00000000429C: 923C4682
	v_add_u32_e32 v7, s60, v6                                  // 0000000042A0: 680E0C3C
	s_mov_b32 s72, s55                                         // 0000000042A4: BEC80037
	v_add_u32_e32 v6, s72, v6                                  // 0000000042A8: 680C0C48
	v_add_u32_e32 v8, s72, v7                                  // 0000000042AC: 68100E48
	v_mov_b32_e32 v7, 0                                        // 0000000042B0: 7E0E0280
	v_mov_b32_e32 v9, 0                                        // 0000000042B4: 7E120280
	s_mul_i32 s60, 3, s2                                       // 0000000042B8: 923C0283
	s_lshr_b32 s61, s50, 6                                     // 0000000042BC: 8F3D8632
	s_sub_i32 s73, s61, s60                                    // 0000000042C0: 81C93C3D
	s_cmp_lt_i32 s73, 3                                        // 0000000042C4: BF048349
	s_cselect_b32 s73, s73, 3                                  // 0000000042C8: 85498349
	v_lshrrev_b32_e32 v28, 2, v0                               // 0000000042CC: 20380082
	v_and_b32_e32 v29, 3, v28                                  // 0000000042D0: 263A3883
	v_lshrrev_b32_e32 v30, 3, v28                              // 0000000042D4: 203C3883
	v_lshlrev_b32_e32 v30, 2, v30                              // 0000000042D8: 243C3C82
	v_add_u32_e32 v28, v30, v29                                // 0000000042DC: 68383B1E
	s_lshr_b32 s60, s47, 1                                     // 0000000042E0: 8F3C812F
	s_sub_i32 s60, 1, s60                                      // 0000000042E4: 81BC3C81
	v_mul_i32_i24_e64 v29, s60, 8                              // 0000000042E8: D106001D 0001103C
	v_mov_b32_e32 v30, s94                                     // 0000000042F0: 7E3C025E
	v_sub_u32_e64 v30, v30, 64                                 // 0000000042F4: D135001E 0001811E
	v_lshrrev_b32_e32 v30, 3, v30                              // 0000000042FC: 203C3C83
	v_add_u32_e32 v29, v30, v29                                // 000000004300: 683A3B1E
	v_cmp_lt_u32_e64 s[88:89], v28, v29                        // 000000004304: D0C90058 00023B1C
	s_mov_b32 s86, -1                                          // 00000000430C: BED600C1
	s_mov_b32 s87, -1                                          // 000000004310: BED700C1
	v_and_b32_e32 v28, 15, v0                                  // 000000004314: 2638008F
	v_mov_b32_e32 v29, s94                                     // 000000004318: 7E3A025E
	v_lshrrev_b32_e32 v29, 3, v29                              // 00000000431C: 203A3A83
	v_cmp_lt_u32_e64 s[90:91], v28, v29                        // 000000004320: D0C9005A 00023B1C
	v_and_b32_e32 v28, 31, v0                                  // 000000004328: 2638009F
	v_lshrrev_b32_e32 v28, 2, v28                              // 00000000432C: 20383882
	v_mov_b32_e32 v29, s94                                     // 000000004330: 7E3A025E
	v_sub_u32_e64 v29, v29, 64                                 // 000000004334: D135001D 0001811D
	v_lshrrev_b32_e32 v29, 3, v29                              // 00000000433C: 203A3A83
	v_cmp_lt_u32_e64 s[92:93], v28, v29                        // 000000004340: D0C9005C 00023B1C
	v_and_b32_e32 v28, 31, v0                                  // 000000004348: 2638009F
	v_lshrrev_b32_e32 v28, 1, v28                              // 00000000434C: 20383881
	v_and_b32_e32 v29, 1, v28                                  // 000000004350: 263A3881
	v_lshlrev_b32_e32 v29, 4, v29                              // 000000004354: 243A3A84
	v_and_b32_e32 v30, 2, v28                                  // 000000004358: 263C3882
	v_lshlrev_b32_e32 v30, 2, v30                              // 00000000435C: 243C3C82
	v_add_u32_e32 v29, v30, v29                                // 000000004360: 683A3B1E
	v_and_b32_e32 v30, 12, v28                                 // 000000004364: 263C388C
	v_lshrrev_b32_e32 v30, 1, v30                              // 000000004368: 203C3C81
	v_add_u32_e32 v29, v30, v29                                // 00000000436C: 683A3B1E
	v_lshrrev_b32_e32 v28, 5, v0                               // 000000004370: 20380085
	v_mul_i32_i24_e32 v30, 0x80, v28                           // 000000004374: 0C3C38FF 00000080
	v_add_u32_e32 v29, v30, v29                                // 00000000437C: 683A3B1E
	v_and_b32_e32 v30, 1, v0                                   // 000000004380: 263C0081
	v_add_u32_e32 v13, v30, v29                                // 000000004384: 681A3B1E
	s_and_b32 s60, 1, s47                                      // 000000004388: 863C2F81
	s_mul_i32 s60, s60, 64                                     // 00000000438C: 923CC03C
	s_lshr_b32 s61, s47, 1                                     // 000000004390: 8F3D812F
	s_mul_i32 s61, s61, 0x220                                  // 000000004394: 923DFF3D 00000220
	s_add_u32 s60, s60, s61                                    // 00000000439C: 803C3D3C
	v_add_u32_e32 v13, s60, v13                                // 0000000043A0: 681A1A3C
	v_lshlrev_b32_e32 v13, 2, v13                              // 0000000043A4: 241A1A82
	v_lshrrev_b32_e32 v28, 4, v0                               // 0000000043A8: 20380084
	v_and_b32_e32 v29, 1, v28                                  // 0000000043AC: 263A3881
	v_lshlrev_b32_e32 v29, 4, v29                              // 0000000043B0: 243A3A84
	v_and_b32_e32 v30, 2, v28                                  // 0000000043B4: 263C3882
	v_mul_i32_i24_e32 v30, 4, v30                              // 0000000043B8: 0C3C3C84
	v_add_u32_e32 v29, v30, v29                                // 0000000043BC: 683A3B1E
	v_and_b32_e32 v28, 15, v0                                  // 0000000043C0: 2638008F
	v_lshrrev_b32_e32 v30, 2, v28                              // 0000000043C4: 203C3882
	v_lshlrev_b32_e32 v30, 5, v30                              // 0000000043C8: 243C3C85
	v_add_u32_e32 v29, v30, v29                                // 0000000043CC: 683A3B1E
	v_and_b32_e32 v28, 3, v0                                   // 0000000043D0: 26380083
	v_and_b32_e32 v30, 1, v28                                  // 0000000043D4: 263C3881
	v_mul_i32_i24_e32 v30, 0x108, v30                          // 0000000043D8: 0C3C3CFF 00000108
	v_add_u32_e32 v29, v30, v29                                // 0000000043E0: 683A3B1E
	v_and_b32_e32 v30, 2, v28                                  // 0000000043E4: 263C3882
	v_lshlrev_b32_e32 v30, 1, v30                              // 0000000043E8: 243C3C81
	v_add_u32_e32 v12, v30, v29                                // 0000000043EC: 68183B1E
	v_lshlrev_b32_e32 v12, 2, v12                              // 0000000043F0: 24181882
	s_mul_i32 s60, s47, 0x1100                                 // 0000000043F4: 923CFF2F 00001100
	v_add_u32_e32 v24, s60, v12                                // 0000000043FC: 6830183C
	v_lshrrev_b32_e32 v28, 5, v0                               // 000000004400: 20380085
	v_mul_i32_i24_e32 v15, 0x80, v28                           // 000000004404: 0C1E38FF 00000080
	v_and_b32_e32 v28, 31, v0                                  // 00000000440C: 2638009F
	v_and_b32_e32 v29, 7, v28                                  // 000000004410: 263A3887
	v_and_b32_e32 v30, 1, v29                                  // 000000004414: 263C3A81
	v_lshlrev_b32_e32 v30, 2, v30                              // 000000004418: 243C3C82
	v_add_u32_e32 v15, v30, v15                                // 00000000441C: 681E1F1E
	v_and_b32_e32 v30, 2, v29                                  // 000000004420: 263C3A82
	v_lshlrev_b32_e32 v30, 3, v30                              // 000000004424: 243C3C83
	v_add_u32_e32 v15, v30, v15                                // 000000004428: 681E1F1E
	v_and_b32_e32 v30, 4, v29                                  // 00000000442C: 263C3A84
	v_lshlrev_b32_e32 v30, 1, v30                              // 000000004430: 243C3C81
	v_add_u32_e32 v15, v30, v15                                // 000000004434: 681E1F1E
	v_lshrrev_b32_e32 v29, 3, v28                              // 000000004438: 203A3883
	v_and_b32_e32 v30, 1, v29                                  // 00000000443C: 263C3A81
	v_lshlrev_b32_e32 v30, 1, v30                              // 000000004440: 243C3C81
	v_add_u32_e32 v15, v30, v15                                // 000000004444: 681E1F1E
	v_and_b32_e32 v30, 2, v29                                  // 000000004448: 263C3A82
	v_lshrrev_b32_e32 v30, 1, v30                              // 00000000444C: 203C3C81
	v_add_u32_e32 v15, v30, v15                                // 000000004450: 681E1F1E
	s_and_b32 s60, 1, s47                                      // 000000004454: 863C2F81
	s_mul_i32 s60, s60, 64                                     // 000000004458: 923CC03C
	s_lshr_b32 s61, s47, 1                                     // 00000000445C: 8F3D812F
	s_mul_i32 s61, s61, 0x220                                  // 000000004460: 923DFF3D 00000220
	s_add_u32 s60, s60, s61                                    // 000000004468: 803C3D3C
	v_add_u32_e32 v15, s60, v15                                // 00000000446C: 681E1E3C
	v_lshlrev_b32_e32 v15, 2, v15                              // 000000004470: 241E1E82
	v_and_b32_e32 v28, 15, v0                                  // 000000004474: 2638008F
	v_and_b32_e32 v30, 1, v28                                  // 000000004478: 263C3881
	v_mul_i32_i24_e32 v14, 0x108, v30                          // 00000000447C: 0C1C3CFF 00000108
	v_and_b32_e32 v30, 2, v28                                  // 000000004484: 263C3882
	v_lshlrev_b32_e32 v30, 1, v30                              // 000000004488: 243C3C81
	v_add_u32_e32 v14, v30, v14                                // 00000000448C: 681C1D1E
	v_and_b32_e32 v30, 4, v28                                  // 000000004490: 263C3884
	v_lshlrev_b32_e32 v30, 2, v30                              // 000000004494: 243C3C82
	v_add_u32_e32 v14, v30, v14                                // 000000004498: 681C1D1E
	v_and_b32_e32 v30, 8, v28                                  // 00000000449C: 263C3888
	v_add_u32_e32 v14, v30, v14                                // 0000000044A0: 681C1D1E
	v_lshrrev_b32_e32 v28, 4, v0                               // 0000000044A4: 20380084
	v_and_b32_e32 v30, 1, v28                                  // 0000000044A8: 263C3881
	v_lshlrev_b32_e32 v30, 5, v30                              // 0000000044AC: 243C3C85
	v_add_u32_e32 v14, v30, v14                                // 0000000044B0: 681C1D1E
	v_and_b32_e32 v29, 2, v28                                  // 0000000044B4: 263A3882
	v_mul_i32_i24_e32 v30, 32, v29                             // 0000000044B8: 0C3C3AA0
	v_mul_i32_i24_e32 v29, 0x220, v29                          // 0000000044BC: 0C3A3AFF 00000220
	v_add_u32_e32 v25, v29, v14                                // 0000000044C4: 68321D1D
	v_add_u32_e32 v14, v30, v14                                // 0000000044C8: 681C1D1E
	v_lshlrev_b32_e32 v14, 2, v14                              // 0000000044CC: 241C1C82
	v_lshlrev_b32_e32 v25, 2, v25                              // 0000000044D0: 24323282
	s_and_b32 s60, 1, s47                                      // 0000000044D4: 863C2F81
	s_mul_i32 s60, s60, 0x200                                  // 0000000044D8: 923CFF3C 00000200
	s_lshr_b32 s61, s47, 1                                     // 0000000044E0: 8F3D812F
	s_mul_i32 s61, s61, 0x880                                  // 0000000044E4: 923DFF3D 00000880
	s_add_u32 s60, s60, s61                                    // 0000000044EC: 803C3D3C
	v_add_u32_e32 v25, s60, v25                                // 0000000044F0: 6832323C
	v_lshrrev_b32_e32 v28, 4, v0                               // 0000000044F4: 20380084
	v_mul_i32_i24_e32 v23, 4, v28                              // 0000000044F8: 0C2E3884
	v_and_b32_e32 v29, 3, v0                                   // 0000000044FC: 263A0083
	v_add_u32_e32 v23, v29, v23                                // 000000004500: 682E2F1D
	v_lshlrev_b32_e32 v23, 2, v23                              // 000000004504: 242E2E82
	v_lshrrev_b32_e32 v28, 5, v0                               // 000000004508: 20380085
	v_mul_i32_i24_e32 v21, 2, v28                              // 00000000450C: 0C2A3882
	v_and_b32_e32 v28, 31, v0                                  // 000000004510: 2638009F
	v_lshrrev_b32_e32 v28, 1, v28                              // 000000004514: 20383881
	v_mul_i32_i24_e32 v29, 34, v28                             // 000000004518: 0C3A38A2
	v_add_u32_e32 v21, v29, v21                                // 00000000451C: 682A2B1D
	v_and_b32_e32 v29, 1, v0                                   // 000000004520: 263A0081
	v_add_u32_e32 v21, v29, v21                                // 000000004524: 682A2B1D
	s_mul_i32 s60, s47, 8                                      // 000000004528: 923C882F
	v_add_u32_e32 v21, s60, v21                                // 00000000452C: 682A2A3C
	v_lshlrev_b32_e32 v21, 2, v21                              // 000000004530: 242A2A82
	v_lshrrev_b32_e32 v28, 4, v0                               // 000000004534: 20380084
	v_mul_i32_i24_e32 v22, 34, v28                             // 000000004538: 0C2C38A2
	v_and_b32_e32 v28, 15, v0                                  // 00000000453C: 2638008F
	v_mul_i32_i24_e32 v29, 2, v28                              // 000000004540: 0C3A3882
	v_add_u32_e32 v22, v29, v22                                // 000000004544: 682C2D1D
	s_mul_i32 s60, s47, 0x110                                  // 000000004548: 923CFF2F 00000110
	v_add_u32_e32 v22, s60, v22                                // 000000004550: 682C2C3C
	v_lshlrev_b32_e32 v22, 2, v22                              // 000000004554: 242C2C82
	v_lshrrev_b32_e32 v28, 5, v0                               // 000000004558: 20380085
	v_mul_i32_i24_e32 v19, 64, v28                             // 00000000455C: 0C2638C0
	v_and_b32_e32 v28, 31, v0                                  // 000000004560: 2638009F
	v_and_b32_e32 v28, 3, v28                                  // 000000004564: 26383883
	v_and_b32_e32 v29, 1, v28                                  // 000000004568: 263A3881
	v_mul_i32_i24_e32 v29, 4, v29                              // 00000000456C: 0C3A3A84
	v_add_u32_e32 v19, v29, v19                                // 000000004570: 6826271D
	v_and_b32_e32 v29, 2, v28                                  // 000000004574: 263A3882
	v_mul_i32_i24_e32 v29, 0x44, v29                           // 000000004578: 0C3A3AFF 00000044
	v_add_u32_e32 v19, v29, v19                                // 000000004580: 6826271D
	v_and_b32_e32 v28, 31, v0                                  // 000000004584: 2638009F
	v_lshrrev_b32_e32 v28, 2, v28                              // 000000004588: 20383882
	v_lshrrev_b32_e32 v30, 2, v28                              // 00000000458C: 203C3882
	v_mul_i32_i24_e32 v29, 16, v30                             // 000000004590: 0C3A3C90
	v_add_u32_e32 v19, v29, v19                                // 000000004594: 6826271D
	v_and_b32_e32 v29, 2, v28                                  // 000000004598: 263A3882
	v_lshlrev_b32_e32 v29, 4, v29                              // 00000000459C: 243A3A84
	v_add_u32_e32 v19, v29, v19                                // 0000000045A0: 6826271D
	v_and_b32_e32 v29, 1, v28                                  // 0000000045A4: 263A3881
	v_xor_b32_e32 v29, v30, v29                                // 0000000045A8: 2A3A3B1E
	v_mul_i32_i24_e32 v29, 8, v29                              // 0000000045AC: 0C3A3A88
	v_add_u32_e32 v19, v29, v19                                // 0000000045B0: 6826271D
	v_lshlrev_b32_e32 v19, 2, v19                              // 0000000045B4: 24262682
	v_lshrrev_b32_e32 v28, 5, v0                               // 0000000045B8: 20380085
	v_mul_i32_i24_e32 v20, 32, v28                             // 0000000045BC: 0C2838A0
	v_and_b32_e32 v28, 31, v0                                  // 0000000045C0: 2638009F
	v_and_b32_e32 v28, 3, v28                                  // 0000000045C4: 26383883
	v_and_b32_e32 v29, 1, v28                                  // 0000000045C8: 263A3881
	v_mul_i32_i24_e32 v29, 4, v29                              // 0000000045CC: 0C3A3A84
	v_add_u32_e32 v20, v29, v20                                // 0000000045D0: 6828291D
	v_and_b32_e32 v29, 2, v28                                  // 0000000045D4: 263A3882
	v_lshrrev_b32_e32 v29, 1, v29                              // 0000000045D8: 203A3A81
	v_add_u32_e32 v20, v29, v20                                // 0000000045DC: 6828291D
	v_and_b32_e32 v28, 31, v0                                  // 0000000045E0: 2638009F
	v_lshrrev_b32_e32 v28, 2, v28                              // 0000000045E4: 20383882
	v_and_b32_e32 v30, 1, v28                                  // 0000000045E8: 263C3881
	v_mul_i32_i24_e32 v29, 16, v30                             // 0000000045EC: 0C3A3C90
	v_add_u32_e32 v20, v29, v20                                // 0000000045F0: 6828291D
	v_and_b32_e32 v29, 2, v28                                  // 0000000045F4: 263A3882
	v_add_u32_e32 v20, v29, v20                                // 0000000045F8: 6828291D
	v_lshrrev_b32_e32 v29, 2, v28                              // 0000000045FC: 203A3882
	v_xor_b32_e32 v29, v30, v29                                // 000000004600: 2A3A3B1E
	v_mul_i32_i24_e32 v29, 8, v29                              // 000000004604: 0C3A3A88
	v_add_u32_e32 v20, v29, v20                                // 000000004608: 6828291D
	s_and_b32 s60, 1, s47                                      // 00000000460C: 863C2F81
	s_mul_i32 s60, s60, 64                                     // 000000004610: 923CC03C
	s_lshr_b32 s61, s47, 1                                     // 000000004614: 8F3D812F
	s_mul_i32 s61, s61, 0x120                                  // 000000004618: 923DFF3D 00000120
	s_add_u32 s60, s60, s61                                    // 000000004620: 803C3D3C
	v_add_u32_e32 v20, s60, v20                                // 000000004624: 6828283C
	v_lshlrev_b32_e32 v20, 2, v20                              // 000000004628: 24282882
	v_mov_b32_e32 v152, 0                                      // 00000000462C: 7F300280
	s_mov_b64 exec, s[88:89]                                   // 000000004630: BEFE0158
	buffer_load_dword v152, v1, s[12:15], 0 idxen              // 000000004634: E0502000 80039801
	s_mov_b64 exec, s[86:87]                                   // 00000000463C: BEFE0156
	v_mov_b32_e32 v153, 0                                      // 000000004640: 7F320280
	s_mov_b64 exec, s[88:89]                                   // 000000004644: BEFE0158
	buffer_load_dword v153, v2, s[12:15], 0 idxen              // 000000004648: E0502000 80039902
	s_mov_b64 exec, s[86:87]                                   // 000000004650: BEFE0156
	v_mov_b32_e32 v154, 0                                      // 000000004654: 7F340280
	s_mov_b64 exec, s[88:89]                                   // 000000004658: BEFE0158
	buffer_load_dword v154, v3, s[12:15], 0 idxen              // 00000000465C: E0502000 80039A03
	s_mov_b64 exec, s[86:87]                                   // 000000004664: BEFE0156
	v_mov_b32_e32 v155, 0                                      // 000000004668: 7F360280
	s_mov_b64 exec, s[88:89]                                   // 00000000466C: BEFE0158
	buffer_load_dword v155, v4, s[12:15], 0 idxen              // 000000004670: E0502000 80039B04
	s_mov_b64 exec, s[86:87]                                   // 000000004678: BEFE0156
	s_mul_i32 s60, 16, s7                                      // 00000000467C: 923C0790
	s_cmp_lt_i32 0, s73                                        // 000000004680: BF044980
	s_cselect_b32 s60, s60, 0                                  // 000000004684: 853C803C
	s_add_u32 s12, s60, s12                                    // 000000004688: 800C0C3C
	s_addc_u32 s13, 0, s13                                     // 00000000468C: 820D0D80
	v_mov_b32_e32 v156, 0                                      // 000000004690: 7F380280
	s_mov_b64 exec, s[88:89]                                   // 000000004694: BEFE0158
	buffer_load_dword v156, v1, s[12:15], 0 idxen              // 000000004698: E0502000 80039C01
	s_mov_b64 exec, s[86:87]                                   // 0000000046A0: BEFE0156
	v_mov_b32_e32 v157, 0                                      // 0000000046A4: 7F3A0280
	s_mov_b64 exec, s[88:89]                                   // 0000000046A8: BEFE0158
	buffer_load_dword v157, v2, s[12:15], 0 idxen              // 0000000046AC: E0502000 80039D02
	s_mov_b64 exec, s[86:87]                                   // 0000000046B4: BEFE0156
	v_mov_b32_e32 v158, 0                                      // 0000000046B8: 7F3C0280
	s_mov_b64 exec, s[88:89]                                   // 0000000046BC: BEFE0158
	buffer_load_dword v158, v3, s[12:15], 0 idxen              // 0000000046C0: E0502000 80039E03
	s_mov_b64 exec, s[86:87]                                   // 0000000046C8: BEFE0156
	v_mov_b32_e32 v159, 0                                      // 0000000046CC: 7F3E0280
	s_mov_b64 exec, s[88:89]                                   // 0000000046D0: BEFE0158
	buffer_load_dword v159, v4, s[12:15], 0 idxen              // 0000000046D4: E0502000 80039F04
	s_mov_b64 exec, s[86:87]                                   // 0000000046DC: BEFE0156
	s_mul_i32 s60, 16, s7                                      // 0000000046E0: 923C0790
	s_cmp_lt_i32 0, s73                                        // 0000000046E4: BF044980
	s_cselect_b32 s60, s60, 0                                  // 0000000046E8: 853C803C
	s_add_u32 s12, s60, s12                                    // 0000000046EC: 800C0C3C
	s_addc_u32 s13, 0, s13                                     // 0000000046F0: 820D0D80
	v_mov_b32_e32 v160, 0                                      // 0000000046F4: 7F400280
	s_mov_b64 exec, s[88:89]                                   // 0000000046F8: BEFE0158
	buffer_load_dword v160, v1, s[12:15], 0 idxen              // 0000000046FC: E0502000 8003A001
	s_mov_b64 exec, s[86:87]                                   // 000000004704: BEFE0156
	v_mov_b32_e32 v161, 0                                      // 000000004708: 7F420280
	s_mov_b64 exec, s[88:89]                                   // 00000000470C: BEFE0158
	buffer_load_dword v161, v2, s[12:15], 0 idxen              // 000000004710: E0502000 8003A102
	s_mov_b64 exec, s[86:87]                                   // 000000004718: BEFE0156
	v_mov_b32_e32 v162, 0                                      // 00000000471C: 7F440280
	s_mov_b64 exec, s[88:89]                                   // 000000004720: BEFE0158
	buffer_load_dword v162, v3, s[12:15], 0 idxen              // 000000004724: E0502000 8003A203
	s_mov_b64 exec, s[86:87]                                   // 00000000472C: BEFE0156
	v_mov_b32_e32 v163, 0                                      // 000000004730: 7F460280
	s_mov_b64 exec, s[88:89]                                   // 000000004734: BEFE0158
	buffer_load_dword v163, v4, s[12:15], 0 idxen              // 000000004738: E0502000 8003A304
	s_mov_b64 exec, s[86:87]                                   // 000000004740: BEFE0156
	s_mul_i32 s60, 16, s7                                      // 000000004744: 923C0790
	s_cmp_lt_i32 0, s73                                        // 000000004748: BF044980
	s_cselect_b32 s60, s60, 0                                  // 00000000474C: 853C803C
	s_add_u32 s12, s60, s12                                    // 000000004750: 800C0C3C
	s_addc_u32 s13, 0, s13                                     // 000000004754: 820D0D80
	v_mov_b32_e32 v164, 0                                      // 000000004758: 7F480280
	s_mov_b64 exec, s[88:89]                                   // 00000000475C: BEFE0158
	buffer_load_dword v164, v1, s[12:15], 0 idxen              // 000000004760: E0502000 8003A401
	s_mov_b64 exec, s[86:87]                                   // 000000004768: BEFE0156
	v_mov_b32_e32 v165, 0                                      // 00000000476C: 7F4A0280
	s_mov_b64 exec, s[88:89]                                   // 000000004770: BEFE0158
	buffer_load_dword v165, v2, s[12:15], 0 idxen              // 000000004774: E0502000 8003A502
	s_mov_b64 exec, s[86:87]                                   // 00000000477C: BEFE0156
	v_mov_b32_e32 v166, 0                                      // 000000004780: 7F4C0280
	s_mov_b64 exec, s[88:89]                                   // 000000004784: BEFE0158
	buffer_load_dword v166, v3, s[12:15], 0 idxen              // 000000004788: E0502000 8003A603
	s_mov_b64 exec, s[86:87]                                   // 000000004790: BEFE0156
	v_mov_b32_e32 v167, 0                                      // 000000004794: 7F4E0280
	s_mov_b64 exec, s[88:89]                                   // 000000004798: BEFE0158
	buffer_load_dword v167, v4, s[12:15], 0 idxen              // 00000000479C: E0502000 8003A704
	s_mov_b64 exec, s[86:87]                                   // 0000000047A4: BEFE0156
	s_mul_i32 s60, 16, s7                                      // 0000000047A8: 923C0790
	s_cmp_lt_i32 1, s73                                        // 0000000047AC: BF044981
	s_cselect_b32 s60, s60, 0                                  // 0000000047B0: 853C803C
	s_add_u32 s12, s60, s12                                    // 0000000047B4: 800C0C3C
	s_addc_u32 s13, 0, s13                                     // 0000000047B8: 820D0D80
	v_mov_b32_e32 v168, 0                                      // 0000000047BC: 7F500280
	s_mov_b64 exec, s[88:89]                                   // 0000000047C0: BEFE0158
	buffer_load_dword v168, v1, s[12:15], 0 idxen              // 0000000047C4: E0502000 8003A801
	s_mov_b64 exec, s[86:87]                                   // 0000000047CC: BEFE0156
	v_mov_b32_e32 v169, 0                                      // 0000000047D0: 7F520280
	s_mov_b64 exec, s[88:89]                                   // 0000000047D4: BEFE0158
	buffer_load_dword v169, v2, s[12:15], 0 idxen              // 0000000047D8: E0502000 8003A902
	s_mov_b64 exec, s[86:87]                                   // 0000000047E0: BEFE0156
	v_mov_b32_e32 v170, 0                                      // 0000000047E4: 7F540280
	s_mov_b64 exec, s[88:89]                                   // 0000000047E8: BEFE0158
	buffer_load_dword v170, v3, s[12:15], 0 idxen              // 0000000047EC: E0502000 8003AA03
	s_mov_b64 exec, s[86:87]                                   // 0000000047F4: BEFE0156
	v_mov_b32_e32 v171, 0                                      // 0000000047F8: 7F560280
	s_mov_b64 exec, s[88:89]                                   // 0000000047FC: BEFE0158
	buffer_load_dword v171, v4, s[12:15], 0 idxen              // 000000004800: E0502000 8003AB04
	s_mov_b64 exec, s[86:87]                                   // 000000004808: BEFE0156
	s_mul_i32 s60, 16, s7                                      // 00000000480C: 923C0790
	s_cmp_lt_i32 1, s73                                        // 000000004810: BF044981
	s_cselect_b32 s60, s60, 0                                  // 000000004814: 853C803C
	s_add_u32 s12, s60, s12                                    // 000000004818: 800C0C3C
	s_addc_u32 s13, 0, s13                                     // 00000000481C: 820D0D80
	v_mov_b32_e32 v172, 0                                      // 000000004820: 7F580280
	s_mov_b64 exec, s[88:89]                                   // 000000004824: BEFE0158
	buffer_load_dword v172, v1, s[12:15], 0 idxen              // 000000004828: E0502000 8003AC01
	s_mov_b64 exec, s[86:87]                                   // 000000004830: BEFE0156
	v_mov_b32_e32 v173, 0                                      // 000000004834: 7F5A0280
	s_mov_b64 exec, s[88:89]                                   // 000000004838: BEFE0158
	buffer_load_dword v173, v2, s[12:15], 0 idxen              // 00000000483C: E0502000 8003AD02
	s_mov_b64 exec, s[86:87]                                   // 000000004844: BEFE0156
	v_mov_b32_e32 v174, 0                                      // 000000004848: 7F5C0280
	s_mov_b64 exec, s[88:89]                                   // 00000000484C: BEFE0158
	buffer_load_dword v174, v3, s[12:15], 0 idxen              // 000000004850: E0502000 8003AE03
	s_mov_b64 exec, s[86:87]                                   // 000000004858: BEFE0156
	v_mov_b32_e32 v175, 0                                      // 00000000485C: 7F5E0280
	s_mov_b64 exec, s[88:89]                                   // 000000004860: BEFE0158
	buffer_load_dword v175, v4, s[12:15], 0 idxen              // 000000004864: E0502000 8003AF04
	s_mov_b64 exec, s[86:87]                                   // 00000000486C: BEFE0156
	s_mul_i32 s60, 16, s7                                      // 000000004870: 923C0790
	s_cmp_lt_i32 1, s73                                        // 000000004874: BF044981
	s_cselect_b32 s60, s60, 0                                  // 000000004878: 853C803C
	s_add_u32 s12, s60, s12                                    // 00000000487C: 800C0C3C
	s_addc_u32 s13, 0, s13                                     // 000000004880: 820D0D80
	v_mov_b32_e32 v176, 0                                      // 000000004884: 7F600280
	s_mov_b64 exec, s[88:89]                                   // 000000004888: BEFE0158
	buffer_load_dword v176, v1, s[12:15], 0 idxen              // 00000000488C: E0502000 8003B001
	s_mov_b64 exec, s[86:87]                                   // 000000004894: BEFE0156
	v_mov_b32_e32 v177, 0                                      // 000000004898: 7F620280
	s_mov_b64 exec, s[88:89]                                   // 00000000489C: BEFE0158
	buffer_load_dword v177, v2, s[12:15], 0 idxen              // 0000000048A0: E0502000 8003B102
	s_mov_b64 exec, s[86:87]                                   // 0000000048A8: BEFE0156
	v_mov_b32_e32 v178, 0                                      // 0000000048AC: 7F640280
	s_mov_b64 exec, s[88:89]                                   // 0000000048B0: BEFE0158
	buffer_load_dword v178, v3, s[12:15], 0 idxen              // 0000000048B4: E0502000 8003B203
	s_mov_b64 exec, s[86:87]                                   // 0000000048BC: BEFE0156
	v_mov_b32_e32 v179, 0                                      // 0000000048C0: 7F660280
	s_mov_b64 exec, s[88:89]                                   // 0000000048C4: BEFE0158
	buffer_load_dword v179, v4, s[12:15], 0 idxen              // 0000000048C8: E0502000 8003B304
	s_mov_b64 exec, s[86:87]                                   // 0000000048D0: BEFE0156
	s_mul_i32 s60, 16, s7                                      // 0000000048D4: 923C0790
	s_cmp_lt_i32 1, s73                                        // 0000000048D8: BF044981
	s_cselect_b32 s60, s60, 0                                  // 0000000048DC: 853C803C
	s_add_u32 s12, s60, s12                                    // 0000000048E0: 800C0C3C
	s_addc_u32 s13, 0, s13                                     // 0000000048E4: 820D0D80
	v_mov_b32_e32 v180, 0                                      // 0000000048E8: 7F680280
	s_mov_b64 exec, s[88:89]                                   // 0000000048EC: BEFE0158
	buffer_load_dword v180, v1, s[12:15], 0 idxen              // 0000000048F0: E0502000 8003B401
	s_mov_b64 exec, s[86:87]                                   // 0000000048F8: BEFE0156
	v_mov_b32_e32 v181, 0                                      // 0000000048FC: 7F6A0280
	s_mov_b64 exec, s[88:89]                                   // 000000004900: BEFE0158
	buffer_load_dword v181, v2, s[12:15], 0 idxen              // 000000004904: E0502000 8003B502
	s_mov_b64 exec, s[86:87]                                   // 00000000490C: BEFE0156
	v_mov_b32_e32 v182, 0                                      // 000000004910: 7F6C0280
	s_mov_b64 exec, s[88:89]                                   // 000000004914: BEFE0158
	buffer_load_dword v182, v3, s[12:15], 0 idxen              // 000000004918: E0502000 8003B603
	s_mov_b64 exec, s[86:87]                                   // 000000004920: BEFE0156
	v_mov_b32_e32 v183, 0                                      // 000000004924: 7F6E0280
	s_mov_b64 exec, s[88:89]                                   // 000000004928: BEFE0158
	buffer_load_dword v183, v4, s[12:15], 0 idxen              // 00000000492C: E0502000 8003B704
	s_mov_b64 exec, s[86:87]                                   // 000000004934: BEFE0156
	s_mul_i32 s60, 16, s7                                      // 000000004938: 923C0790
	s_cmp_lt_i32 2, s73                                        // 00000000493C: BF044982
	s_cselect_b32 s60, s60, 0                                  // 000000004940: 853C803C
	s_add_u32 s12, s60, s12                                    // 000000004944: 800C0C3C
	s_addc_u32 s13, 0, s13                                     // 000000004948: 820D0D80
	v_mov_b32_e32 v184, 0                                      // 00000000494C: 7F700280
	s_mov_b64 exec, s[88:89]                                   // 000000004950: BEFE0158
	buffer_load_dword v184, v1, s[12:15], 0 idxen              // 000000004954: E0502000 8003B801
	s_mov_b64 exec, s[86:87]                                   // 00000000495C: BEFE0156
	v_mov_b32_e32 v185, 0                                      // 000000004960: 7F720280
	s_mov_b64 exec, s[88:89]                                   // 000000004964: BEFE0158
	buffer_load_dword v185, v2, s[12:15], 0 idxen              // 000000004968: E0502000 8003B902
	s_mov_b64 exec, s[86:87]                                   // 000000004970: BEFE0156
	v_mov_b32_e32 v186, 0                                      // 000000004974: 7F740280
	s_mov_b64 exec, s[88:89]                                   // 000000004978: BEFE0158
	buffer_load_dword v186, v3, s[12:15], 0 idxen              // 00000000497C: E0502000 8003BA03
	s_mov_b64 exec, s[86:87]                                   // 000000004984: BEFE0156
	v_mov_b32_e32 v187, 0                                      // 000000004988: 7F760280
	s_mov_b64 exec, s[88:89]                                   // 00000000498C: BEFE0158
	buffer_load_dword v187, v4, s[12:15], 0 idxen              // 000000004990: E0502000 8003BB04
	s_mov_b64 exec, s[86:87]                                   // 000000004998: BEFE0156
	s_mul_i32 s60, 16, s7                                      // 00000000499C: 923C0790
	s_cmp_lt_i32 2, s73                                        // 0000000049A0: BF044982
	s_cselect_b32 s60, s60, 0                                  // 0000000049A4: 853C803C
	s_add_u32 s12, s60, s12                                    // 0000000049A8: 800C0C3C
	s_addc_u32 s13, 0, s13                                     // 0000000049AC: 820D0D80
	v_mov_b32_e32 v188, 0                                      // 0000000049B0: 7F780280
	s_mov_b64 exec, s[88:89]                                   // 0000000049B4: BEFE0158
	buffer_load_dword v188, v1, s[12:15], 0 idxen              // 0000000049B8: E0502000 8003BC01
	s_mov_b64 exec, s[86:87]                                   // 0000000049C0: BEFE0156
	v_mov_b32_e32 v189, 0                                      // 0000000049C4: 7F7A0280
	s_mov_b64 exec, s[88:89]                                   // 0000000049C8: BEFE0158
	buffer_load_dword v189, v2, s[12:15], 0 idxen              // 0000000049CC: E0502000 8003BD02
	s_mov_b64 exec, s[86:87]                                   // 0000000049D4: BEFE0156
	v_mov_b32_e32 v190, 0                                      // 0000000049D8: 7F7C0280
	s_mov_b64 exec, s[88:89]                                   // 0000000049DC: BEFE0158
	buffer_load_dword v190, v3, s[12:15], 0 idxen              // 0000000049E0: E0502000 8003BE03
	s_mov_b64 exec, s[86:87]                                   // 0000000049E8: BEFE0156
	v_mov_b32_e32 v191, 0                                      // 0000000049EC: 7F7E0280
	s_mov_b64 exec, s[88:89]                                   // 0000000049F0: BEFE0158
	buffer_load_dword v191, v4, s[12:15], 0 idxen              // 0000000049F4: E0502000 8003BF04
	s_mov_b64 exec, s[86:87]                                   // 0000000049FC: BEFE0156
	s_mul_i32 s60, 16, s7                                      // 000000004A00: 923C0790
	s_cmp_lt_i32 2, s73                                        // 000000004A04: BF044982
	s_cselect_b32 s60, s60, 0                                  // 000000004A08: 853C803C
	s_add_u32 s12, s60, s12                                    // 000000004A0C: 800C0C3C
	s_addc_u32 s13, 0, s13                                     // 000000004A10: 820D0D80
	v_mov_b32_e32 v192, 0                                      // 000000004A14: 7F800280
	s_mov_b64 exec, s[88:89]                                   // 000000004A18: BEFE0158
	buffer_load_dword v192, v1, s[12:15], 0 idxen              // 000000004A1C: E0502000 8003C001
	s_mov_b64 exec, s[86:87]                                   // 000000004A24: BEFE0156
	v_mov_b32_e32 v193, 0                                      // 000000004A28: 7F820280
	s_mov_b64 exec, s[88:89]                                   // 000000004A2C: BEFE0158
	buffer_load_dword v193, v2, s[12:15], 0 idxen              // 000000004A30: E0502000 8003C102
	s_mov_b64 exec, s[86:87]                                   // 000000004A38: BEFE0156
	v_mov_b32_e32 v194, 0                                      // 000000004A3C: 7F840280
	s_mov_b64 exec, s[88:89]                                   // 000000004A40: BEFE0158
	buffer_load_dword v194, v3, s[12:15], 0 idxen              // 000000004A44: E0502000 8003C203
	s_mov_b64 exec, s[86:87]                                   // 000000004A4C: BEFE0156
	v_mov_b32_e32 v195, 0                                      // 000000004A50: 7F860280
	s_mov_b64 exec, s[88:89]                                   // 000000004A54: BEFE0158
	buffer_load_dword v195, v4, s[12:15], 0 idxen              // 000000004A58: E0502000 8003C304
	s_mov_b64 exec, s[86:87]                                   // 000000004A60: BEFE0156
	s_mul_i32 s60, 16, s7                                      // 000000004A64: 923C0790
	s_cmp_lt_i32 2, s73                                        // 000000004A68: BF044982
	s_cselect_b32 s60, s60, 0                                  // 000000004A6C: 853C803C
	s_add_u32 s12, s60, s12                                    // 000000004A70: 800C0C3C
	s_addc_u32 s13, 0, s13                                     // 000000004A74: 820D0D80
	v_mov_b32_e32 v196, 0                                      // 000000004A78: 7F880280
	s_mov_b64 exec, s[88:89]                                   // 000000004A7C: BEFE0158
	buffer_load_dword v196, v1, s[12:15], 0 idxen              // 000000004A80: E0502000 8003C401
	s_mov_b64 exec, s[86:87]                                   // 000000004A88: BEFE0156
	v_mov_b32_e32 v197, 0                                      // 000000004A8C: 7F8A0280
	s_mov_b64 exec, s[88:89]                                   // 000000004A90: BEFE0158
	buffer_load_dword v197, v2, s[12:15], 0 idxen              // 000000004A94: E0502000 8003C502
	s_mov_b64 exec, s[86:87]                                   // 000000004A9C: BEFE0156
	v_mov_b32_e32 v198, 0                                      // 000000004AA0: 7F8C0280
	s_mov_b64 exec, s[88:89]                                   // 000000004AA4: BEFE0158
	buffer_load_dword v198, v3, s[12:15], 0 idxen              // 000000004AA8: E0502000 8003C603
	s_mov_b64 exec, s[86:87]                                   // 000000004AB0: BEFE0156
	v_mov_b32_e32 v199, 0                                      // 000000004AB4: 7F8E0280
	s_mov_b64 exec, s[88:89]                                   // 000000004AB8: BEFE0158
	buffer_load_dword v199, v4, s[12:15], 0 idxen              // 000000004ABC: E0502000 8003C704
	s_mov_b64 exec, s[86:87]                                   // 000000004AC4: BEFE0156
	s_mul_i32 s60, 16, s7                                      // 000000004AC8: 923C0790
	s_cmp_lt_i32 3, s73                                        // 000000004ACC: BF044983
	s_cselect_b32 s60, s60, 0                                  // 000000004AD0: 853C803C
	s_add_u32 s12, s60, s12                                    // 000000004AD4: 800C0C3C
	s_addc_u32 s13, 0, s13                                     // 000000004AD8: 820D0D80
	s_waitcnt vmcnt(32) lgkmcnt(0)                             // 000000004ADC: BF8C8070
	s_barrier                                                  // 000000004AE0: BF8A0000
	s_cmp_lt_i32 0, s73                                        // 000000004AE4: BF044980
	s_cbranch_scc1 label_034B                                  // 000000004AE8: BF850010
	v_mov_b32_e32 v152, 0                                      // 000000004AEC: 7F300280
	v_mov_b32_e32 v153, 0                                      // 000000004AF0: 7F320280
	v_mov_b32_e32 v154, 0                                      // 000000004AF4: 7F340280
	v_mov_b32_e32 v155, 0                                      // 000000004AF8: 7F360280
	v_mov_b32_e32 v156, 0                                      // 000000004AFC: 7F380280
	v_mov_b32_e32 v157, 0                                      // 000000004B00: 7F3A0280
	v_mov_b32_e32 v158, 0                                      // 000000004B04: 7F3C0280
	v_mov_b32_e32 v159, 0                                      // 000000004B08: 7F3E0280
	v_mov_b32_e32 v160, 0                                      // 000000004B0C: 7F400280
	v_mov_b32_e32 v161, 0                                      // 000000004B10: 7F420280
	v_mov_b32_e32 v162, 0                                      // 000000004B14: 7F440280
	v_mov_b32_e32 v163, 0                                      // 000000004B18: 7F460280
	v_mov_b32_e32 v164, 0                                      // 000000004B1C: 7F480280
	v_mov_b32_e32 v165, 0                                      // 000000004B20: 7F4A0280
	v_mov_b32_e32 v166, 0                                      // 000000004B24: 7F4C0280
	v_mov_b32_e32 v167, 0                                      // 000000004B28: 7F4E0280

0000000000004b2c <label_034B>:
	v_perm_b32 v200, v153, v152, s63                           // 000000004B2C: D1ED00C8 00FF3199
	v_perm_b32 v201, v153, v152, s64                           // 000000004B34: D1ED00C9 01033199
	v_perm_b32 v202, v155, v154, s63                           // 000000004B3C: D1ED00CA 00FF359B
	v_perm_b32 v203, v155, v154, s64                           // 000000004B44: D1ED00CB 0103359B
	v_perm_b32 v204, v157, v156, s63                           // 000000004B4C: D1ED00CC 00FF399D
	v_perm_b32 v205, v157, v156, s64                           // 000000004B54: D1ED00CD 0103399D
	v_perm_b32 v206, v159, v158, s63                           // 000000004B5C: D1ED00CE 00FF3D9F
	v_perm_b32 v207, v159, v158, s64                           // 000000004B64: D1ED00CF 01033D9F
	v_perm_b32 v208, v161, v160, s63                           // 000000004B6C: D1ED00D0 00FF41A1
	v_perm_b32 v209, v161, v160, s64                           // 000000004B74: D1ED00D1 010341A1
	v_perm_b32 v210, v163, v162, s63                           // 000000004B7C: D1ED00D2 00FF45A3
	v_perm_b32 v211, v163, v162, s64                           // 000000004B84: D1ED00D3 010345A3
	v_perm_b32 v212, v165, v164, s63                           // 000000004B8C: D1ED00D4 00FF49A5
	v_perm_b32 v213, v165, v164, s64                           // 000000004B94: D1ED00D5 010349A5
	v_perm_b32 v214, v167, v166, s63                           // 000000004B9C: D1ED00D6 00FF4DA7
	v_perm_b32 v215, v167, v166, s64                           // 000000004BA4: D1ED00D7 01034DA7
	ds_write_b32 v15, v200 offset:17408                        // 000000004BAC: D81A4400 0000C80F
	ds_write_b32 v15, v201 offset:18464                        // 000000004BB4: D81A4820 0000C90F
	ds_write_b32 v15, v202 offset:17536                        // 000000004BBC: D81A4480 0000CA0F
	ds_write_b32 v15, v203 offset:18592                        // 000000004BC4: D81A48A0 0000CB0F
	ds_write_b32 v15, v204 offset:21760                        // 000000004BCC: D81A5500 0000CC0F
	ds_write_b32 v15, v205 offset:22816                        // 000000004BD4: D81A5920 0000CD0F
	ds_write_b32 v15, v206 offset:21888                        // 000000004BDC: D81A5580 0000CE0F
	ds_write_b32 v15, v207 offset:22944                        // 000000004BE4: D81A59A0 0000CF0F
	ds_write_b32 v15, v208 offset:26112                        // 000000004BEC: D81A6600 0000D00F
	ds_write_b32 v15, v209 offset:27168                        // 000000004BF4: D81A6A20 0000D10F
	ds_write_b32 v15, v210 offset:26240                        // 000000004BFC: D81A6680 0000D20F
	ds_write_b32 v15, v211 offset:27296                        // 000000004C04: D81A6AA0 0000D30F
	ds_write_b32 v15, v212 offset:30464                        // 000000004C0C: D81A7700 0000D40F
	ds_write_b32 v15, v213 offset:31520                        // 000000004C14: D81A7B20 0000D50F
	ds_write_b32 v15, v214 offset:30592                        // 000000004C1C: D81A7780 0000D60F
	ds_write_b32 v15, v215 offset:31648                        // 000000004C24: D81A7BA0 0000D70F
	ds_write_b32 v13, v152                                     // 000000004C2C: D81A0000 0000980D
	ds_write_b32 v13, v153 offset:1056                         // 000000004C34: D81A0420 0000990D
	ds_write_b32 v13, v154 offset:128                          // 000000004C3C: D81A0080 00009A0D
	ds_write_b32 v13, v155 offset:1184                         // 000000004C44: D81A04A0 00009B0D
	ds_write_b32 v13, v156 offset:4352                         // 000000004C4C: D81A1100 00009C0D
	ds_write_b32 v13, v157 offset:5408                         // 000000004C54: D81A1520 00009D0D
	ds_write_b32 v13, v158 offset:4480                         // 000000004C5C: D81A1180 00009E0D
	ds_write_b32 v13, v159 offset:5536                         // 000000004C64: D81A15A0 00009F0D
	ds_write_b32 v13, v160 offset:8704                         // 000000004C6C: D81A2200 0000A00D
	ds_write_b32 v13, v161 offset:9760                         // 000000004C74: D81A2620 0000A10D
	ds_write_b32 v13, v162 offset:8832                         // 000000004C7C: D81A2280 0000A20D
	ds_write_b32 v13, v163 offset:9888                         // 000000004C84: D81A26A0 0000A30D
	ds_write_b32 v13, v164 offset:13056                        // 000000004C8C: D81A3300 0000A40D
	ds_write_b32 v13, v165 offset:14112                        // 000000004C94: D81A3720 0000A50D
	ds_write_b32 v13, v166 offset:13184                        // 000000004C9C: D81A3380 0000A60D
	ds_write_b32 v13, v167 offset:14240                        // 000000004CA4: D81A37A0 0000A70D
	v_mov_b32_e32 v152, 0                                      // 000000004CAC: 7F300280
	s_mov_b64 exec, s[88:89]                                   // 000000004CB0: BEFE0158
	buffer_load_dword v152, v1, s[16:19], 0 idxen              // 000000004CB4: E0502000 80049801
	s_mov_b64 exec, s[86:87]                                   // 000000004CBC: BEFE0156
	v_mov_b32_e32 v153, 0                                      // 000000004CC0: 7F320280
	s_mov_b64 exec, s[88:89]                                   // 000000004CC4: BEFE0158
	buffer_load_dword v153, v2, s[16:19], 0 idxen              // 000000004CC8: E0502000 80049902
	s_mov_b64 exec, s[86:87]                                   // 000000004CD0: BEFE0156
	v_mov_b32_e32 v154, 0                                      // 000000004CD4: 7F340280
	s_mov_b64 exec, s[88:89]                                   // 000000004CD8: BEFE0158
	buffer_load_dword v154, v3, s[16:19], 0 idxen              // 000000004CDC: E0502000 80049A03
	s_mov_b64 exec, s[86:87]                                   // 000000004CE4: BEFE0156
	v_mov_b32_e32 v155, 0                                      // 000000004CE8: 7F360280
	s_mov_b64 exec, s[88:89]                                   // 000000004CEC: BEFE0158
	buffer_load_dword v155, v4, s[16:19], 0 idxen              // 000000004CF0: E0502000 80049B04
	s_mov_b64 exec, s[86:87]                                   // 000000004CF8: BEFE0156
	s_mul_i32 s60, 16, s7                                      // 000000004CFC: 923C0790
	s_cmp_lt_i32 0, s73                                        // 000000004D00: BF044980
	s_cselect_b32 s60, s60, 0                                  // 000000004D04: 853C803C
	s_add_u32 s16, s60, s16                                    // 000000004D08: 8010103C
	s_addc_u32 s17, 0, s17                                     // 000000004D0C: 82111180
	v_mov_b32_e32 v156, 0                                      // 000000004D10: 7F380280
	s_mov_b64 exec, s[88:89]                                   // 000000004D14: BEFE0158
	buffer_load_dword v156, v1, s[16:19], 0 idxen              // 000000004D18: E0502000 80049C01
	s_mov_b64 exec, s[86:87]                                   // 000000004D20: BEFE0156
	v_mov_b32_e32 v157, 0                                      // 000000004D24: 7F3A0280
	s_mov_b64 exec, s[88:89]                                   // 000000004D28: BEFE0158
	buffer_load_dword v157, v2, s[16:19], 0 idxen              // 000000004D2C: E0502000 80049D02
	s_mov_b64 exec, s[86:87]                                   // 000000004D34: BEFE0156
	v_mov_b32_e32 v158, 0                                      // 000000004D38: 7F3C0280
	s_mov_b64 exec, s[88:89]                                   // 000000004D3C: BEFE0158
	buffer_load_dword v158, v3, s[16:19], 0 idxen              // 000000004D40: E0502000 80049E03
	s_mov_b64 exec, s[86:87]                                   // 000000004D48: BEFE0156
	v_mov_b32_e32 v159, 0                                      // 000000004D4C: 7F3E0280
	s_mov_b64 exec, s[88:89]                                   // 000000004D50: BEFE0158
	buffer_load_dword v159, v4, s[16:19], 0 idxen              // 000000004D54: E0502000 80049F04
	s_mov_b64 exec, s[86:87]                                   // 000000004D5C: BEFE0156
	s_mul_i32 s60, 16, s7                                      // 000000004D60: 923C0790
	s_cmp_lt_i32 0, s73                                        // 000000004D64: BF044980
	s_cselect_b32 s60, s60, 0                                  // 000000004D68: 853C803C
	s_add_u32 s16, s60, s16                                    // 000000004D6C: 8010103C
	s_addc_u32 s17, 0, s17                                     // 000000004D70: 82111180
	v_mov_b32_e32 v160, 0                                      // 000000004D74: 7F400280
	s_mov_b64 exec, s[88:89]                                   // 000000004D78: BEFE0158
	buffer_load_dword v160, v1, s[16:19], 0 idxen              // 000000004D7C: E0502000 8004A001
	s_mov_b64 exec, s[86:87]                                   // 000000004D84: BEFE0156
	v_mov_b32_e32 v161, 0                                      // 000000004D88: 7F420280
	s_mov_b64 exec, s[88:89]                                   // 000000004D8C: BEFE0158
	buffer_load_dword v161, v2, s[16:19], 0 idxen              // 000000004D90: E0502000 8004A102
	s_mov_b64 exec, s[86:87]                                   // 000000004D98: BEFE0156
	v_mov_b32_e32 v162, 0                                      // 000000004D9C: 7F440280
	s_mov_b64 exec, s[88:89]                                   // 000000004DA0: BEFE0158
	buffer_load_dword v162, v3, s[16:19], 0 idxen              // 000000004DA4: E0502000 8004A203
	s_mov_b64 exec, s[86:87]                                   // 000000004DAC: BEFE0156
	v_mov_b32_e32 v163, 0                                      // 000000004DB0: 7F460280
	s_mov_b64 exec, s[88:89]                                   // 000000004DB4: BEFE0158
	buffer_load_dword v163, v4, s[16:19], 0 idxen              // 000000004DB8: E0502000 8004A304
	s_mov_b64 exec, s[86:87]                                   // 000000004DC0: BEFE0156
	s_mul_i32 s60, 16, s7                                      // 000000004DC4: 923C0790
	s_cmp_lt_i32 0, s73                                        // 000000004DC8: BF044980
	s_cselect_b32 s60, s60, 0                                  // 000000004DCC: 853C803C
	s_add_u32 s16, s60, s16                                    // 000000004DD0: 8010103C
	s_addc_u32 s17, 0, s17                                     // 000000004DD4: 82111180
	v_mov_b32_e32 v164, 0                                      // 000000004DD8: 7F480280
	s_mov_b64 exec, s[88:89]                                   // 000000004DDC: BEFE0158
	buffer_load_dword v164, v1, s[16:19], 0 idxen              // 000000004DE0: E0502000 8004A401
	s_mov_b64 exec, s[86:87]                                   // 000000004DE8: BEFE0156
	v_mov_b32_e32 v165, 0                                      // 000000004DEC: 7F4A0280
	s_mov_b64 exec, s[88:89]                                   // 000000004DF0: BEFE0158
	buffer_load_dword v165, v2, s[16:19], 0 idxen              // 000000004DF4: E0502000 8004A502
	s_mov_b64 exec, s[86:87]                                   // 000000004DFC: BEFE0156
	v_mov_b32_e32 v166, 0                                      // 000000004E00: 7F4C0280
	s_mov_b64 exec, s[88:89]                                   // 000000004E04: BEFE0158
	buffer_load_dword v166, v3, s[16:19], 0 idxen              // 000000004E08: E0502000 8004A603
	s_mov_b64 exec, s[86:87]                                   // 000000004E10: BEFE0156
	v_mov_b32_e32 v167, 0                                      // 000000004E14: 7F4E0280
	s_mov_b64 exec, s[88:89]                                   // 000000004E18: BEFE0158
	buffer_load_dword v167, v4, s[16:19], 0 idxen              // 000000004E1C: E0502000 8004A704
	s_mov_b64 exec, s[86:87]                                   // 000000004E24: BEFE0156
	s_mul_i32 s60, 16, s7                                      // 000000004E28: 923C0790
	s_cmp_lt_i32 1, s73                                        // 000000004E2C: BF044981
	s_cselect_b32 s60, s60, 0                                  // 000000004E30: 853C803C
	s_add_u32 s16, s60, s16                                    // 000000004E34: 8010103C
	s_addc_u32 s17, 0, s17                                     // 000000004E38: 82111180
	s_waitcnt lgkmcnt(0)                                       // 000000004E3C: BF8CC07F
	s_barrier                                                  // 000000004E40: BF8A0000
	ds_read_b128 a[48:51], v25 offset:17408                    // 000000004E44: DBFE4400 30000019
	ds_read_b128 a[52:55], v25 offset:17664                    // 000000004E4C: DBFE4500 34000019
	ds_read_b128 a[56:59], v25 offset:26112                    // 000000004E54: DBFE6600 38000019
	ds_read_b128 a[60:63], v25 offset:26368                    // 000000004E5C: DBFE6700 3C000019
	ds_read_b128 a[0:3], v24                                   // 000000004E64: DBFE0000 00000018
	ds_read_b128 a[4:7], v24 offset:512                        // 000000004E6C: DBFE0200 04000018
	ds_read_b128 a[8:11], v24 offset:2176                      // 000000004E74: DBFE0880 08000018
	ds_read_b128 a[12:15], v24 offset:2688                     // 000000004E7C: DBFE0A80 0C000018
	s_waitcnt vmcnt(32) lgkmcnt(0)                             // 000000004E84: BF8C8070
	s_barrier                                                  // 000000004E88: BF8A0000
	s_cmp_lt_i32 1, s73                                        // 000000004E8C: BF044981
	s_cbranch_scc1 label_0435                                  // 000000004E90: BF850010
	v_mov_b32_e32 v168, 0                                      // 000000004E94: 7F500280
	v_mov_b32_e32 v169, 0                                      // 000000004E98: 7F520280
	v_mov_b32_e32 v170, 0                                      // 000000004E9C: 7F540280
	v_mov_b32_e32 v171, 0                                      // 000000004EA0: 7F560280
	v_mov_b32_e32 v172, 0                                      // 000000004EA4: 7F580280
	v_mov_b32_e32 v173, 0                                      // 000000004EA8: 7F5A0280
	v_mov_b32_e32 v174, 0                                      // 000000004EAC: 7F5C0280
	v_mov_b32_e32 v175, 0                                      // 000000004EB0: 7F5E0280
	v_mov_b32_e32 v176, 0                                      // 000000004EB4: 7F600280
	v_mov_b32_e32 v177, 0                                      // 000000004EB8: 7F620280
	v_mov_b32_e32 v178, 0                                      // 000000004EBC: 7F640280
	v_mov_b32_e32 v179, 0                                      // 000000004EC0: 7F660280
	v_mov_b32_e32 v180, 0                                      // 000000004EC4: 7F680280
	v_mov_b32_e32 v181, 0                                      // 000000004EC8: 7F6A0280
	v_mov_b32_e32 v182, 0                                      // 000000004ECC: 7F6C0280
	v_mov_b32_e32 v183, 0                                      // 000000004ED0: 7F6E0280

0000000000004ed4 <label_0435>:
	v_perm_b32 v200, v169, v168, s63                           // 000000004ED4: D1ED00C8 00FF51A9
	v_perm_b32 v201, v169, v168, s64                           // 000000004EDC: D1ED00C9 010351A9
	v_perm_b32 v202, v171, v170, s63                           // 000000004EE4: D1ED00CA 00FF55AB
	v_perm_b32 v203, v171, v170, s64                           // 000000004EEC: D1ED00CB 010355AB
	v_perm_b32 v204, v173, v172, s63                           // 000000004EF4: D1ED00CC 00FF59AD
	v_perm_b32 v205, v173, v172, s64                           // 000000004EFC: D1ED00CD 010359AD
	v_perm_b32 v206, v175, v174, s63                           // 000000004F04: D1ED00CE 00FF5DAF
	v_perm_b32 v207, v175, v174, s64                           // 000000004F0C: D1ED00CF 01035DAF
	v_perm_b32 v208, v177, v176, s63                           // 000000004F14: D1ED00D0 00FF61B1
	v_perm_b32 v209, v177, v176, s64                           // 000000004F1C: D1ED00D1 010361B1
	v_perm_b32 v210, v179, v178, s63                           // 000000004F24: D1ED00D2 00FF65B3
	v_perm_b32 v211, v179, v178, s64                           // 000000004F2C: D1ED00D3 010365B3
	v_perm_b32 v212, v181, v180, s63                           // 000000004F34: D1ED00D4 00FF69B5
	v_perm_b32 v213, v181, v180, s64                           // 000000004F3C: D1ED00D5 010369B5
	v_perm_b32 v214, v183, v182, s63                           // 000000004F44: D1ED00D6 00FF6DB7
	v_perm_b32 v215, v183, v182, s64                           // 000000004F4C: D1ED00D7 01036DB7
	ds_write_b32 v15, v200 offset:17408                        // 000000004F54: D81A4400 0000C80F
	ds_write_b32 v15, v201 offset:18464                        // 000000004F5C: D81A4820 0000C90F
	ds_write_b32 v15, v202 offset:17536                        // 000000004F64: D81A4480 0000CA0F
	ds_write_b32 v15, v203 offset:18592                        // 000000004F6C: D81A48A0 0000CB0F
	ds_write_b32 v15, v204 offset:21760                        // 000000004F74: D81A5500 0000CC0F
	ds_write_b32 v15, v205 offset:22816                        // 000000004F7C: D81A5920 0000CD0F
	ds_write_b32 v15, v206 offset:21888                        // 000000004F84: D81A5580 0000CE0F
	ds_write_b32 v15, v207 offset:22944                        // 000000004F8C: D81A59A0 0000CF0F
	ds_write_b32 v15, v208 offset:26112                        // 000000004F94: D81A6600 0000D00F
	ds_write_b32 v15, v209 offset:27168                        // 000000004F9C: D81A6A20 0000D10F
	ds_write_b32 v15, v210 offset:26240                        // 000000004FA4: D81A6680 0000D20F
	ds_write_b32 v15, v211 offset:27296                        // 000000004FAC: D81A6AA0 0000D30F
	ds_write_b32 v15, v212 offset:30464                        // 000000004FB4: D81A7700 0000D40F
	ds_write_b32 v15, v213 offset:31520                        // 000000004FBC: D81A7B20 0000D50F
	ds_write_b32 v15, v214 offset:30592                        // 000000004FC4: D81A7780 0000D60F
	ds_write_b32 v15, v215 offset:31648                        // 000000004FCC: D81A7BA0 0000D70F
	ds_write_b32 v13, v168                                     // 000000004FD4: D81A0000 0000A80D
	ds_write_b32 v13, v169 offset:1056                         // 000000004FDC: D81A0420 0000A90D
	ds_write_b32 v13, v170 offset:128                          // 000000004FE4: D81A0080 0000AA0D
	ds_write_b32 v13, v171 offset:1184                         // 000000004FEC: D81A04A0 0000AB0D
	ds_write_b32 v13, v172 offset:4352                         // 000000004FF4: D81A1100 0000AC0D
	ds_write_b32 v13, v173 offset:5408                         // 000000004FFC: D81A1520 0000AD0D
	ds_write_b32 v13, v174 offset:4480                         // 000000005004: D81A1180 0000AE0D
	ds_write_b32 v13, v175 offset:5536                         // 00000000500C: D81A15A0 0000AF0D
	ds_write_b32 v13, v176 offset:8704                         // 000000005014: D81A2200 0000B00D
	ds_write_b32 v13, v177 offset:9760                         // 00000000501C: D81A2620 0000B10D
	ds_write_b32 v13, v178 offset:8832                         // 000000005024: D81A2280 0000B20D
	ds_write_b32 v13, v179 offset:9888                         // 00000000502C: D81A26A0 0000B30D
	ds_write_b32 v13, v180 offset:13056                        // 000000005034: D81A3300 0000B40D
	ds_write_b32 v13, v181 offset:14112                        // 00000000503C: D81A3720 0000B50D
	ds_write_b32 v13, v182 offset:13184                        // 000000005044: D81A3380 0000B60D
	ds_write_b32 v13, v183 offset:14240                        // 00000000504C: D81A37A0 0000B70D
	v_mov_b32_e32 v168, 0                                      // 000000005054: 7F500280
	s_mov_b64 exec, s[88:89]                                   // 000000005058: BEFE0158
	buffer_load_dword v168, v1, s[16:19], 0 idxen              // 00000000505C: E0502000 8004A801
	s_mov_b64 exec, s[86:87]                                   // 000000005064: BEFE0156
	v_mov_b32_e32 v169, 0                                      // 000000005068: 7F520280
	s_mov_b64 exec, s[88:89]                                   // 00000000506C: BEFE0158
	buffer_load_dword v169, v2, s[16:19], 0 idxen              // 000000005070: E0502000 8004A902
	s_mov_b64 exec, s[86:87]                                   // 000000005078: BEFE0156
	v_mov_b32_e32 v170, 0                                      // 00000000507C: 7F540280
	s_mov_b64 exec, s[88:89]                                   // 000000005080: BEFE0158
	buffer_load_dword v170, v3, s[16:19], 0 idxen              // 000000005084: E0502000 8004AA03
	s_mov_b64 exec, s[86:87]                                   // 00000000508C: BEFE0156
	v_mov_b32_e32 v171, 0                                      // 000000005090: 7F560280
	s_mov_b64 exec, s[88:89]                                   // 000000005094: BEFE0158
	buffer_load_dword v171, v4, s[16:19], 0 idxen              // 000000005098: E0502000 8004AB04
	s_mov_b64 exec, s[86:87]                                   // 0000000050A0: BEFE0156
	s_mul_i32 s60, 16, s7                                      // 0000000050A4: 923C0790
	s_cmp_lt_i32 1, s73                                        // 0000000050A8: BF044981
	s_cselect_b32 s60, s60, 0                                  // 0000000050AC: 853C803C
	s_add_u32 s16, s60, s16                                    // 0000000050B0: 8010103C
	s_addc_u32 s17, 0, s17                                     // 0000000050B4: 82111180
	v_mov_b32_e32 v172, 0                                      // 0000000050B8: 7F580280
	s_mov_b64 exec, s[88:89]                                   // 0000000050BC: BEFE0158
	buffer_load_dword v172, v1, s[16:19], 0 idxen              // 0000000050C0: E0502000 8004AC01
	s_mov_b64 exec, s[86:87]                                   // 0000000050C8: BEFE0156
	v_mov_b32_e32 v173, 0                                      // 0000000050CC: 7F5A0280
	s_mov_b64 exec, s[88:89]                                   // 0000000050D0: BEFE0158
	buffer_load_dword v173, v2, s[16:19], 0 idxen              // 0000000050D4: E0502000 8004AD02
	s_mov_b64 exec, s[86:87]                                   // 0000000050DC: BEFE0156
	v_mov_b32_e32 v174, 0                                      // 0000000050E0: 7F5C0280
	s_mov_b64 exec, s[88:89]                                   // 0000000050E4: BEFE0158
	buffer_load_dword v174, v3, s[16:19], 0 idxen              // 0000000050E8: E0502000 8004AE03
	s_mov_b64 exec, s[86:87]                                   // 0000000050F0: BEFE0156
	v_mov_b32_e32 v175, 0                                      // 0000000050F4: 7F5E0280
	s_mov_b64 exec, s[88:89]                                   // 0000000050F8: BEFE0158
	buffer_load_dword v175, v4, s[16:19], 0 idxen              // 0000000050FC: E0502000 8004AF04
	s_mov_b64 exec, s[86:87]                                   // 000000005104: BEFE0156
	s_mul_i32 s60, 16, s7                                      // 000000005108: 923C0790
	s_cmp_lt_i32 1, s73                                        // 00000000510C: BF044981
	s_cselect_b32 s60, s60, 0                                  // 000000005110: 853C803C
	s_add_u32 s16, s60, s16                                    // 000000005114: 8010103C
	s_addc_u32 s17, 0, s17                                     // 000000005118: 82111180
	v_mov_b32_e32 v176, 0                                      // 00000000511C: 7F600280
	s_mov_b64 exec, s[88:89]                                   // 000000005120: BEFE0158
	buffer_load_dword v176, v1, s[16:19], 0 idxen              // 000000005124: E0502000 8004B001
	s_mov_b64 exec, s[86:87]                                   // 00000000512C: BEFE0156
	v_mov_b32_e32 v177, 0                                      // 000000005130: 7F620280
	s_mov_b64 exec, s[88:89]                                   // 000000005134: BEFE0158
	buffer_load_dword v177, v2, s[16:19], 0 idxen              // 000000005138: E0502000 8004B102
	s_mov_b64 exec, s[86:87]                                   // 000000005140: BEFE0156
	v_mov_b32_e32 v178, 0                                      // 000000005144: 7F640280
	s_mov_b64 exec, s[88:89]                                   // 000000005148: BEFE0158
	buffer_load_dword v178, v3, s[16:19], 0 idxen              // 00000000514C: E0502000 8004B203
	s_mov_b64 exec, s[86:87]                                   // 000000005154: BEFE0156
	v_mov_b32_e32 v179, 0                                      // 000000005158: 7F660280
	s_mov_b64 exec, s[88:89]                                   // 00000000515C: BEFE0158
	buffer_load_dword v179, v4, s[16:19], 0 idxen              // 000000005160: E0502000 8004B304
	s_mov_b64 exec, s[86:87]                                   // 000000005168: BEFE0156
	s_mul_i32 s60, 16, s7                                      // 00000000516C: 923C0790
	s_cmp_lt_i32 1, s73                                        // 000000005170: BF044981
	s_cselect_b32 s60, s60, 0                                  // 000000005174: 853C803C
	s_add_u32 s16, s60, s16                                    // 000000005178: 8010103C
	s_addc_u32 s17, 0, s17                                     // 00000000517C: 82111180
	v_mov_b32_e32 v180, 0                                      // 000000005180: 7F680280
	s_mov_b64 exec, s[88:89]                                   // 000000005184: BEFE0158
	buffer_load_dword v180, v1, s[16:19], 0 idxen              // 000000005188: E0502000 8004B401
	s_mov_b64 exec, s[86:87]                                   // 000000005190: BEFE0156
	v_mov_b32_e32 v181, 0                                      // 000000005194: 7F6A0280
	s_mov_b64 exec, s[88:89]                                   // 000000005198: BEFE0158
	buffer_load_dword v181, v2, s[16:19], 0 idxen              // 00000000519C: E0502000 8004B502
	s_mov_b64 exec, s[86:87]                                   // 0000000051A4: BEFE0156
	v_mov_b32_e32 v182, 0                                      // 0000000051A8: 7F6C0280
	s_mov_b64 exec, s[88:89]                                   // 0000000051AC: BEFE0158
	buffer_load_dword v182, v3, s[16:19], 0 idxen              // 0000000051B0: E0502000 8004B603
	s_mov_b64 exec, s[86:87]                                   // 0000000051B8: BEFE0156
	v_mov_b32_e32 v183, 0                                      // 0000000051BC: 7F6E0280
	s_mov_b64 exec, s[88:89]                                   // 0000000051C0: BEFE0158
	buffer_load_dword v183, v4, s[16:19], 0 idxen              // 0000000051C4: E0502000 8004B704
	s_mov_b64 exec, s[86:87]                                   // 0000000051CC: BEFE0156
	s_mul_i32 s60, 16, s7                                      // 0000000051D0: 923C0790
	s_cmp_lt_i32 2, s73                                        // 0000000051D4: BF044982
	s_cselect_b32 s60, s60, 0                                  // 0000000051D8: 853C803C
	s_add_u32 s16, s60, s16                                    // 0000000051DC: 8010103C
	s_addc_u32 s17, 0, s17                                     // 0000000051E0: 82111180
	s_waitcnt lgkmcnt(0)                                       // 0000000051E4: BF8CC07F
	s_barrier                                                  // 0000000051E8: BF8A0000
	ds_read_b128 a[64:67], v25 offset:17408                    // 0000000051EC: DBFE4400 40000019
	ds_read_b128 a[68:71], v25 offset:17664                    // 0000000051F4: DBFE4500 44000019
	ds_read_b128 a[72:75], v25 offset:26112                    // 0000000051FC: DBFE6600 48000019
	ds_read_b128 a[76:79], v25 offset:26368                    // 000000005204: DBFE6700 4C000019
	ds_read_b128 a[16:19], v24                                 // 00000000520C: DBFE0000 10000018
	ds_read_b128 a[20:23], v24 offset:512                      // 000000005214: DBFE0200 14000018
	ds_read_b128 a[24:27], v24 offset:2176                     // 00000000521C: DBFE0880 18000018
	ds_read_b128 a[28:31], v24 offset:2688                     // 000000005224: DBFE0A80 1C000018
	s_waitcnt vmcnt(32) lgkmcnt(0)                             // 00000000522C: BF8C8070
	s_barrier                                                  // 000000005230: BF8A0000
	s_cmp_lt_i32 2, s73                                        // 000000005234: BF044982
	s_cbranch_scc1 label_051F                                  // 000000005238: BF850010
	v_mov_b32_e32 v184, 0                                      // 00000000523C: 7F700280
	v_mov_b32_e32 v185, 0                                      // 000000005240: 7F720280
	v_mov_b32_e32 v186, 0                                      // 000000005244: 7F740280
	v_mov_b32_e32 v187, 0                                      // 000000005248: 7F760280
	v_mov_b32_e32 v188, 0                                      // 00000000524C: 7F780280
	v_mov_b32_e32 v189, 0                                      // 000000005250: 7F7A0280
	v_mov_b32_e32 v190, 0                                      // 000000005254: 7F7C0280
	v_mov_b32_e32 v191, 0                                      // 000000005258: 7F7E0280
	v_mov_b32_e32 v192, 0                                      // 00000000525C: 7F800280
	v_mov_b32_e32 v193, 0                                      // 000000005260: 7F820280
	v_mov_b32_e32 v194, 0                                      // 000000005264: 7F840280
	v_mov_b32_e32 v195, 0                                      // 000000005268: 7F860280
	v_mov_b32_e32 v196, 0                                      // 00000000526C: 7F880280
	v_mov_b32_e32 v197, 0                                      // 000000005270: 7F8A0280
	v_mov_b32_e32 v198, 0                                      // 000000005274: 7F8C0280
	v_mov_b32_e32 v199, 0                                      // 000000005278: 7F8E0280

000000000000527c <label_051F>:
	v_perm_b32 v200, v185, v184, s63                           // 00000000527C: D1ED00C8 00FF71B9
	v_perm_b32 v201, v185, v184, s64                           // 000000005284: D1ED00C9 010371B9
	v_perm_b32 v202, v187, v186, s63                           // 00000000528C: D1ED00CA 00FF75BB
	v_perm_b32 v203, v187, v186, s64                           // 000000005294: D1ED00CB 010375BB
	v_perm_b32 v204, v189, v188, s63                           // 00000000529C: D1ED00CC 00FF79BD
	v_perm_b32 v205, v189, v188, s64                           // 0000000052A4: D1ED00CD 010379BD
	v_perm_b32 v206, v191, v190, s63                           // 0000000052AC: D1ED00CE 00FF7DBF
	v_perm_b32 v207, v191, v190, s64                           // 0000000052B4: D1ED00CF 01037DBF
	v_perm_b32 v208, v193, v192, s63                           // 0000000052BC: D1ED00D0 00FF81C1
	v_perm_b32 v209, v193, v192, s64                           // 0000000052C4: D1ED00D1 010381C1
	v_perm_b32 v210, v195, v194, s63                           // 0000000052CC: D1ED00D2 00FF85C3
	v_perm_b32 v211, v195, v194, s64                           // 0000000052D4: D1ED00D3 010385C3
	v_perm_b32 v212, v197, v196, s63                           // 0000000052DC: D1ED00D4 00FF89C5
	v_perm_b32 v213, v197, v196, s64                           // 0000000052E4: D1ED00D5 010389C5
	v_perm_b32 v214, v199, v198, s63                           // 0000000052EC: D1ED00D6 00FF8DC7
	v_perm_b32 v215, v199, v198, s64                           // 0000000052F4: D1ED00D7 01038DC7
	ds_write_b32 v15, v200 offset:17408                        // 0000000052FC: D81A4400 0000C80F
	ds_write_b32 v15, v201 offset:18464                        // 000000005304: D81A4820 0000C90F
	ds_write_b32 v15, v202 offset:17536                        // 00000000530C: D81A4480 0000CA0F
	ds_write_b32 v15, v203 offset:18592                        // 000000005314: D81A48A0 0000CB0F
	ds_write_b32 v15, v204 offset:21760                        // 00000000531C: D81A5500 0000CC0F
	ds_write_b32 v15, v205 offset:22816                        // 000000005324: D81A5920 0000CD0F
	ds_write_b32 v15, v206 offset:21888                        // 00000000532C: D81A5580 0000CE0F
	ds_write_b32 v15, v207 offset:22944                        // 000000005334: D81A59A0 0000CF0F
	ds_write_b32 v15, v208 offset:26112                        // 00000000533C: D81A6600 0000D00F
	ds_write_b32 v15, v209 offset:27168                        // 000000005344: D81A6A20 0000D10F
	ds_write_b32 v15, v210 offset:26240                        // 00000000534C: D81A6680 0000D20F
	ds_write_b32 v15, v211 offset:27296                        // 000000005354: D81A6AA0 0000D30F
	ds_write_b32 v15, v212 offset:30464                        // 00000000535C: D81A7700 0000D40F
	ds_write_b32 v15, v213 offset:31520                        // 000000005364: D81A7B20 0000D50F
	ds_write_b32 v15, v214 offset:30592                        // 00000000536C: D81A7780 0000D60F
	ds_write_b32 v15, v215 offset:31648                        // 000000005374: D81A7BA0 0000D70F
	ds_write_b32 v13, v184                                     // 00000000537C: D81A0000 0000B80D
	ds_write_b32 v13, v185 offset:1056                         // 000000005384: D81A0420 0000B90D
	ds_write_b32 v13, v186 offset:128                          // 00000000538C: D81A0080 0000BA0D
	ds_write_b32 v13, v187 offset:1184                         // 000000005394: D81A04A0 0000BB0D
	ds_write_b32 v13, v188 offset:4352                         // 00000000539C: D81A1100 0000BC0D
	ds_write_b32 v13, v189 offset:5408                         // 0000000053A4: D81A1520 0000BD0D
	ds_write_b32 v13, v190 offset:4480                         // 0000000053AC: D81A1180 0000BE0D
	ds_write_b32 v13, v191 offset:5536                         // 0000000053B4: D81A15A0 0000BF0D
	ds_write_b32 v13, v192 offset:8704                         // 0000000053BC: D81A2200 0000C00D
	ds_write_b32 v13, v193 offset:9760                         // 0000000053C4: D81A2620 0000C10D
	ds_write_b32 v13, v194 offset:8832                         // 0000000053CC: D81A2280 0000C20D
	ds_write_b32 v13, v195 offset:9888                         // 0000000053D4: D81A26A0 0000C30D
	ds_write_b32 v13, v196 offset:13056                        // 0000000053DC: D81A3300 0000C40D
	ds_write_b32 v13, v197 offset:14112                        // 0000000053E4: D81A3720 0000C50D
	ds_write_b32 v13, v198 offset:13184                        // 0000000053EC: D81A3380 0000C60D
	ds_write_b32 v13, v199 offset:14240                        // 0000000053F4: D81A37A0 0000C70D
	v_mov_b32_e32 v184, 0                                      // 0000000053FC: 7F700280
	s_mov_b64 exec, s[88:89]                                   // 000000005400: BEFE0158
	buffer_load_dword v184, v1, s[16:19], 0 idxen              // 000000005404: E0502000 8004B801
	s_mov_b64 exec, s[86:87]                                   // 00000000540C: BEFE0156
	v_mov_b32_e32 v185, 0                                      // 000000005410: 7F720280
	s_mov_b64 exec, s[88:89]                                   // 000000005414: BEFE0158
	buffer_load_dword v185, v2, s[16:19], 0 idxen              // 000000005418: E0502000 8004B902
	s_mov_b64 exec, s[86:87]                                   // 000000005420: BEFE0156
	v_mov_b32_e32 v186, 0                                      // 000000005424: 7F740280
	s_mov_b64 exec, s[88:89]                                   // 000000005428: BEFE0158
	buffer_load_dword v186, v3, s[16:19], 0 idxen              // 00000000542C: E0502000 8004BA03
	s_mov_b64 exec, s[86:87]                                   // 000000005434: BEFE0156
	v_mov_b32_e32 v187, 0                                      // 000000005438: 7F760280
	s_mov_b64 exec, s[88:89]                                   // 00000000543C: BEFE0158
	buffer_load_dword v187, v4, s[16:19], 0 idxen              // 000000005440: E0502000 8004BB04
	s_mov_b64 exec, s[86:87]                                   // 000000005448: BEFE0156
	s_mul_i32 s60, 16, s7                                      // 00000000544C: 923C0790
	s_cmp_lt_i32 2, s73                                        // 000000005450: BF044982
	s_cselect_b32 s60, s60, 0                                  // 000000005454: 853C803C
	s_add_u32 s16, s60, s16                                    // 000000005458: 8010103C
	s_addc_u32 s17, 0, s17                                     // 00000000545C: 82111180
	v_mov_b32_e32 v188, 0                                      // 000000005460: 7F780280
	s_mov_b64 exec, s[88:89]                                   // 000000005464: BEFE0158
	buffer_load_dword v188, v1, s[16:19], 0 idxen              // 000000005468: E0502000 8004BC01
	s_mov_b64 exec, s[86:87]                                   // 000000005470: BEFE0156
	v_mov_b32_e32 v189, 0                                      // 000000005474: 7F7A0280
	s_mov_b64 exec, s[88:89]                                   // 000000005478: BEFE0158
	buffer_load_dword v189, v2, s[16:19], 0 idxen              // 00000000547C: E0502000 8004BD02
	s_mov_b64 exec, s[86:87]                                   // 000000005484: BEFE0156
	v_mov_b32_e32 v190, 0                                      // 000000005488: 7F7C0280
	s_mov_b64 exec, s[88:89]                                   // 00000000548C: BEFE0158
	buffer_load_dword v190, v3, s[16:19], 0 idxen              // 000000005490: E0502000 8004BE03
	s_mov_b64 exec, s[86:87]                                   // 000000005498: BEFE0156
	v_mov_b32_e32 v191, 0                                      // 00000000549C: 7F7E0280
	s_mov_b64 exec, s[88:89]                                   // 0000000054A0: BEFE0158
	buffer_load_dword v191, v4, s[16:19], 0 idxen              // 0000000054A4: E0502000 8004BF04
	s_mov_b64 exec, s[86:87]                                   // 0000000054AC: BEFE0156
	s_mul_i32 s60, 16, s7                                      // 0000000054B0: 923C0790
	s_cmp_lt_i32 2, s73                                        // 0000000054B4: BF044982
	s_cselect_b32 s60, s60, 0                                  // 0000000054B8: 853C803C
	s_add_u32 s16, s60, s16                                    // 0000000054BC: 8010103C
	s_addc_u32 s17, 0, s17                                     // 0000000054C0: 82111180
	v_mov_b32_e32 v192, 0                                      // 0000000054C4: 7F800280
	s_mov_b64 exec, s[88:89]                                   // 0000000054C8: BEFE0158
	buffer_load_dword v192, v1, s[16:19], 0 idxen              // 0000000054CC: E0502000 8004C001
	s_mov_b64 exec, s[86:87]                                   // 0000000054D4: BEFE0156
	v_mov_b32_e32 v193, 0                                      // 0000000054D8: 7F820280
	s_mov_b64 exec, s[88:89]                                   // 0000000054DC: BEFE0158
	buffer_load_dword v193, v2, s[16:19], 0 idxen              // 0000000054E0: E0502000 8004C102
	s_mov_b64 exec, s[86:87]                                   // 0000000054E8: BEFE0156
	v_mov_b32_e32 v194, 0                                      // 0000000054EC: 7F840280
	s_mov_b64 exec, s[88:89]                                   // 0000000054F0: BEFE0158
	buffer_load_dword v194, v3, s[16:19], 0 idxen              // 0000000054F4: E0502000 8004C203
	s_mov_b64 exec, s[86:87]                                   // 0000000054FC: BEFE0156
	v_mov_b32_e32 v195, 0                                      // 000000005500: 7F860280
	s_mov_b64 exec, s[88:89]                                   // 000000005504: BEFE0158
	buffer_load_dword v195, v4, s[16:19], 0 idxen              // 000000005508: E0502000 8004C304
	s_mov_b64 exec, s[86:87]                                   // 000000005510: BEFE0156
	s_mul_i32 s60, 16, s7                                      // 000000005514: 923C0790
	s_cmp_lt_i32 2, s73                                        // 000000005518: BF044982
	s_cselect_b32 s60, s60, 0                                  // 00000000551C: 853C803C
	s_add_u32 s16, s60, s16                                    // 000000005520: 8010103C
	s_addc_u32 s17, 0, s17                                     // 000000005524: 82111180
	v_mov_b32_e32 v196, 0                                      // 000000005528: 7F880280
	s_mov_b64 exec, s[88:89]                                   // 00000000552C: BEFE0158
	buffer_load_dword v196, v1, s[16:19], 0 idxen              // 000000005530: E0502000 8004C401
	s_mov_b64 exec, s[86:87]                                   // 000000005538: BEFE0156
	v_mov_b32_e32 v197, 0                                      // 00000000553C: 7F8A0280
	s_mov_b64 exec, s[88:89]                                   // 000000005540: BEFE0158
	buffer_load_dword v197, v2, s[16:19], 0 idxen              // 000000005544: E0502000 8004C502
	s_mov_b64 exec, s[86:87]                                   // 00000000554C: BEFE0156
	v_mov_b32_e32 v198, 0                                      // 000000005550: 7F8C0280
	s_mov_b64 exec, s[88:89]                                   // 000000005554: BEFE0158
	buffer_load_dword v198, v3, s[16:19], 0 idxen              // 000000005558: E0502000 8004C603
	s_mov_b64 exec, s[86:87]                                   // 000000005560: BEFE0156
	v_mov_b32_e32 v199, 0                                      // 000000005564: 7F8E0280
	s_mov_b64 exec, s[88:89]                                   // 000000005568: BEFE0158
	buffer_load_dword v199, v4, s[16:19], 0 idxen              // 00000000556C: E0502000 8004C704
	s_mov_b64 exec, s[86:87]                                   // 000000005574: BEFE0156
	s_mul_i32 s60, 16, s7                                      // 000000005578: 923C0790
	s_cmp_lt_i32 3, s73                                        // 00000000557C: BF044983
	s_cselect_b32 s60, s60, 0                                  // 000000005580: 853C803C
	s_add_u32 s16, s60, s16                                    // 000000005584: 8010103C
	s_addc_u32 s17, 0, s17                                     // 000000005588: 82111180
	s_waitcnt lgkmcnt(0)                                       // 00000000558C: BF8CC07F
	s_barrier                                                  // 000000005590: BF8A0000
	ds_read_b128 a[80:83], v25 offset:17408                    // 000000005594: DBFE4400 50000019
	ds_read_b128 a[84:87], v25 offset:17664                    // 00000000559C: DBFE4500 54000019
	ds_read_b128 a[88:91], v25 offset:26112                    // 0000000055A4: DBFE6600 58000019
	ds_read_b128 a[92:95], v25 offset:26368                    // 0000000055AC: DBFE6700 5C000019
	ds_read_b128 a[32:35], v24                                 // 0000000055B4: DBFE0000 20000018
	ds_read_b128 a[36:39], v24 offset:512                      // 0000000055BC: DBFE0200 24000018
	ds_read_b128 a[40:43], v24 offset:2176                     // 0000000055C4: DBFE0880 28000018
	ds_read_b128 a[44:47], v24 offset:2688                     // 0000000055CC: DBFE0A80 2C000018
	s_waitcnt vmcnt(32) lgkmcnt(0)                             // 0000000055D4: BF8C8070
	s_barrier                                                  // 0000000055D8: BF8A0000
	s_cmp_lt_i32 0, s73                                        // 0000000055DC: BF044980
	s_cbranch_scc1 label_0609                                  // 0000000055E0: BF850010
	v_mov_b32_e32 v152, 0                                      // 0000000055E4: 7F300280
	v_mov_b32_e32 v153, 0                                      // 0000000055E8: 7F320280
	v_mov_b32_e32 v154, 0                                      // 0000000055EC: 7F340280
	v_mov_b32_e32 v155, 0                                      // 0000000055F0: 7F360280
	v_mov_b32_e32 v156, 0                                      // 0000000055F4: 7F380280
	v_mov_b32_e32 v157, 0                                      // 0000000055F8: 7F3A0280
	v_mov_b32_e32 v158, 0                                      // 0000000055FC: 7F3C0280
	v_mov_b32_e32 v159, 0                                      // 000000005600: 7F3E0280
	v_mov_b32_e32 v160, 0                                      // 000000005604: 7F400280
	v_mov_b32_e32 v161, 0                                      // 000000005608: 7F420280
	v_mov_b32_e32 v162, 0                                      // 00000000560C: 7F440280
	v_mov_b32_e32 v163, 0                                      // 000000005610: 7F460280
	v_mov_b32_e32 v164, 0                                      // 000000005614: 7F480280
	v_mov_b32_e32 v165, 0                                      // 000000005618: 7F4A0280
	v_mov_b32_e32 v166, 0                                      // 00000000561C: 7F4C0280
	v_mov_b32_e32 v167, 0                                      // 000000005620: 7F4E0280

0000000000005624 <label_0609>:
	ds_write_b32 v13, v152                                     // 000000005624: D81A0000 0000980D
	ds_write_b32 v13, v153 offset:1056                         // 00000000562C: D81A0420 0000990D
	ds_write_b32 v13, v154 offset:128                          // 000000005634: D81A0080 00009A0D
	ds_write_b32 v13, v155 offset:1184                         // 00000000563C: D81A04A0 00009B0D
	ds_write_b32 v13, v156 offset:4352                         // 000000005644: D81A1100 00009C0D
	ds_write_b32 v13, v157 offset:5408                         // 00000000564C: D81A1520 00009D0D
	ds_write_b32 v13, v158 offset:4480                         // 000000005654: D81A1180 00009E0D
	ds_write_b32 v13, v159 offset:5536                         // 00000000565C: D81A15A0 00009F0D
	ds_write_b32 v13, v160 offset:8704                         // 000000005664: D81A2200 0000A00D
	ds_write_b32 v13, v161 offset:9760                         // 00000000566C: D81A2620 0000A10D
	ds_write_b32 v13, v162 offset:8832                         // 000000005674: D81A2280 0000A20D
	ds_write_b32 v13, v163 offset:9888                         // 00000000567C: D81A26A0 0000A30D
	ds_write_b32 v13, v164 offset:13056                        // 000000005684: D81A3300 0000A40D
	ds_write_b32 v13, v165 offset:14112                        // 00000000568C: D81A3720 0000A50D
	ds_write_b32 v13, v166 offset:13184                        // 000000005694: D81A3380 0000A60D
	ds_write_b32 v13, v167 offset:14240                        // 00000000569C: D81A37A0 0000A70D
	s_mov_b32 s71, s70                                         // 0000000056A4: BEC70046
	v_lshrrev_b32_e32 v28, 4, v0                               // 0000000056A8: 20380084
	v_and_b32_e32 v29, 1, v28                                  // 0000000056AC: 263A3881
	v_lshlrev_b32_e32 v29, 1, v29                              // 0000000056B0: 243A3A81
	v_mul_i32_i24_e32 v29, s71, v29                            // 0000000056B4: 0C3A3A47
	v_and_b32_e32 v30, 2, v28                                  // 0000000056B8: 263C3882
	v_lshlrev_b32_e32 v30, 5, v30                              // 0000000056BC: 243C3C85
	v_add_u32_e32 v29, v30, v29                                // 0000000056C0: 683A3B1E
	v_and_b32_e32 v28, 15, v0                                  // 0000000056C4: 2638008F
	v_lshlrev_b32_e32 v28, 2, v28                              // 0000000056C8: 24383882
	v_add_u32_e32 v1, v28, v29                                 // 0000000056CC: 68023B1C
	s_and_b32 s60, 1, s47                                      // 0000000056D0: 863C2F81
	s_mul_i32 s60, s60, s71                                    // 0000000056D4: 923C473C
	s_mul_i32 s60, s60, 8                                      // 0000000056D8: 923C883C
	s_lshr_b32 s61, s47, 1                                     // 0000000056DC: 8F3D812F
	s_mul_i32 s61, s61, 0x80                                   // 0000000056E0: 923DFF3D 00000080
	s_add_u32 s60, s60, s61                                    // 0000000056E8: 803C3D3C
	v_add_u32_e32 v1, s60, v1                                  // 0000000056EC: 6802023C
	v_add_u32_e32 v2, s71, v1                                  // 0000000056F0: 68040247
	s_mul_i32 s60, 4, s71                                      // 0000000056F4: 923C4784
	v_add_u32_e32 v3, s60, v1                                  // 0000000056F8: 6806023C
	v_add_u32_e32 v4, s60, v2                                  // 0000000056FC: 6808043C
	v_lshrrev_b32_e32 v1, 2, v1                                // 000000005700: 20020282
	v_lshrrev_b32_e32 v2, 2, v2                                // 000000005704: 20040482
	;; [unrolled: 1-line block ×3, first 2 shown]
	v_lshrrev_b32_e32 v4, 2, v4                                // 00000000570C: 20080882
	v_mov_b32_e32 v32, 0                                       // 000000005710: 7E400280
	s_mov_b64 exec, s[88:89]                                   // 000000005714: BEFE0158
	buffer_load_dword v32, v1, s[8:11], 0 idxen                // 000000005718: E0502000 80022001
	s_mov_b64 exec, s[86:87]                                   // 000000005720: BEFE0156
	v_mov_b32_e32 v33, 0                                       // 000000005724: 7E420280
	s_mov_b64 exec, s[88:89]                                   // 000000005728: BEFE0158
	buffer_load_dword v33, v2, s[8:11], 0 idxen                // 00000000572C: E0502000 80022102
	s_mov_b64 exec, s[86:87]                                   // 000000005734: BEFE0156
	v_mov_b32_e32 v34, 0                                       // 000000005738: 7E440280
	s_mov_b64 exec, s[88:89]                                   // 00000000573C: BEFE0158
	buffer_load_dword v34, v3, s[8:11], 0 idxen                // 000000005740: E0502000 80022203
	s_mov_b64 exec, s[86:87]                                   // 000000005748: BEFE0156
	v_mov_b32_e32 v35, 0                                       // 00000000574C: 7E460280
	s_mov_b64 exec, s[88:89]                                   // 000000005750: BEFE0158
	buffer_load_dword v35, v4, s[8:11], 0 idxen                // 000000005754: E0502000 80022304
	s_mov_b64 exec, s[86:87]                                   // 00000000575C: BEFE0156
	v_mov_b32_e32 v40, 0                                       // 000000005760: 7E500280
	s_mov_b64 exec, s[88:89]                                   // 000000005764: BEFE0158
	buffer_load_dword v40, v1, s[20:23], 0 idxen               // 000000005768: E0502000 80052801
	s_mov_b64 exec, s[86:87]                                   // 000000005770: BEFE0156
	v_mov_b32_e32 v41, 0                                       // 000000005774: 7E520280
	s_mov_b64 exec, s[88:89]                                   // 000000005778: BEFE0158
	buffer_load_dword v41, v2, s[20:23], 0 idxen               // 00000000577C: E0502000 80052902
	s_mov_b64 exec, s[86:87]                                   // 000000005784: BEFE0156
	v_mov_b32_e32 v42, 0                                       // 000000005788: 7E540280
	s_mov_b64 exec, s[88:89]                                   // 00000000578C: BEFE0158
	buffer_load_dword v42, v3, s[20:23], 0 idxen               // 000000005790: E0502000 80052A03
	s_mov_b64 exec, s[86:87]                                   // 000000005798: BEFE0156
	v_mov_b32_e32 v43, 0                                       // 00000000579C: 7E560280
	s_mov_b64 exec, s[88:89]                                   // 0000000057A0: BEFE0158
	buffer_load_dword v43, v4, s[20:23], 0 idxen               // 0000000057A4: E0502000 80052B04
	s_mov_b64 exec, s[86:87]                                   // 0000000057AC: BEFE0156
	s_waitcnt lgkmcnt(0)                                       // 0000000057B0: BF8CC07F
	s_barrier                                                  // 0000000057B4: BF8A0000
	ds_read_b128 a[96:99], v24                                 // 0000000057B8: DBFE0000 60000018
	ds_read_b128 a[100:103], v24 offset:512                    // 0000000057C0: DBFE0200 64000018
	ds_read_b128 a[104:107], v24 offset:2176                   // 0000000057C8: DBFE0880 68000018
	ds_read_b128 a[108:111], v24 offset:2688                   // 0000000057D0: DBFE0A80 6C000018
	s_add_u32 s8, s68, s8                                      // 0000000057D8: 80080844
	s_addc_u32 s9, 0, s9                                       // 0000000057DC: 82090980
	s_add_u32 s20, s68, s20                                    // 0000000057E0: 80141444
	s_addc_u32 s21, 0, s21                                     // 0000000057E4: 82151580
	s_waitcnt vmcnt(24) lgkmcnt(0)                             // 0000000057E8: BF8C4078
	s_barrier                                                  // 0000000057EC: BF8A0000
	s_cmp_lt_i32 1, s73                                        // 0000000057F0: BF044981
	s_cbranch_scc1 label_068E                                  // 0000000057F4: BF850010
	v_mov_b32_e32 v168, 0                                      // 0000000057F8: 7F500280
	v_mov_b32_e32 v169, 0                                      // 0000000057FC: 7F520280
	v_mov_b32_e32 v170, 0                                      // 000000005800: 7F540280
	v_mov_b32_e32 v171, 0                                      // 000000005804: 7F560280
	v_mov_b32_e32 v172, 0                                      // 000000005808: 7F580280
	v_mov_b32_e32 v173, 0                                      // 00000000580C: 7F5A0280
	v_mov_b32_e32 v174, 0                                      // 000000005810: 7F5C0280
	v_mov_b32_e32 v175, 0                                      // 000000005814: 7F5E0280
	v_mov_b32_e32 v176, 0                                      // 000000005818: 7F600280
	v_mov_b32_e32 v177, 0                                      // 00000000581C: 7F620280
	v_mov_b32_e32 v178, 0                                      // 000000005820: 7F640280
	v_mov_b32_e32 v179, 0                                      // 000000005824: 7F660280
	v_mov_b32_e32 v180, 0                                      // 000000005828: 7F680280
	v_mov_b32_e32 v181, 0                                      // 00000000582C: 7F6A0280
	v_mov_b32_e32 v182, 0                                      // 000000005830: 7F6C0280
	v_mov_b32_e32 v183, 0                                      // 000000005834: 7F6E0280

0000000000005838 <label_068E>:
	ds_write_b32 v13, v168                                     // 000000005838: D81A0000 0000A80D
	ds_write_b32 v13, v169 offset:1056                         // 000000005840: D81A0420 0000A90D
	ds_write_b32 v13, v170 offset:128                          // 000000005848: D81A0080 0000AA0D
	ds_write_b32 v13, v171 offset:1184                         // 000000005850: D81A04A0 0000AB0D
	ds_write_b32 v13, v172 offset:4352                         // 000000005858: D81A1100 0000AC0D
	ds_write_b32 v13, v173 offset:5408                         // 000000005860: D81A1520 0000AD0D
	ds_write_b32 v13, v174 offset:4480                         // 000000005868: D81A1180 0000AE0D
	ds_write_b32 v13, v175 offset:5536                         // 000000005870: D81A15A0 0000AF0D
	ds_write_b32 v13, v176 offset:8704                         // 000000005878: D81A2200 0000B00D
	ds_write_b32 v13, v177 offset:9760                         // 000000005880: D81A2620 0000B10D
	ds_write_b32 v13, v178 offset:8832                         // 000000005888: D81A2280 0000B20D
	ds_write_b32 v13, v179 offset:9888                         // 000000005890: D81A26A0 0000B30D
	ds_write_b32 v13, v180 offset:13056                        // 000000005898: D81A3300 0000B40D
	ds_write_b32 v13, v181 offset:14112                        // 0000000058A0: D81A3720 0000B50D
	ds_write_b32 v13, v182 offset:13184                        // 0000000058A8: D81A3380 0000B60D
	ds_write_b32 v13, v183 offset:14240                        // 0000000058B0: D81A37A0 0000B70D
	v_mov_b32_e32 v36, 0                                       // 0000000058B8: 7E480280
	s_mov_b64 exec, s[88:89]                                   // 0000000058BC: BEFE0158
	buffer_load_dword v36, v1, s[8:11], 0 idxen                // 0000000058C0: E0502000 80022401
	s_mov_b64 exec, s[86:87]                                   // 0000000058C8: BEFE0156
	v_mov_b32_e32 v37, 0                                       // 0000000058CC: 7E4A0280
	s_mov_b64 exec, s[88:89]                                   // 0000000058D0: BEFE0158
	buffer_load_dword v37, v2, s[8:11], 0 idxen                // 0000000058D4: E0502000 80022502
	s_mov_b64 exec, s[86:87]                                   // 0000000058DC: BEFE0156
	v_mov_b32_e32 v38, 0                                       // 0000000058E0: 7E4C0280
	s_mov_b64 exec, s[88:89]                                   // 0000000058E4: BEFE0158
	buffer_load_dword v38, v3, s[8:11], 0 idxen                // 0000000058E8: E0502000 80022603
	s_mov_b64 exec, s[86:87]                                   // 0000000058F0: BEFE0156
	v_mov_b32_e32 v39, 0                                       // 0000000058F4: 7E4E0280
	s_mov_b64 exec, s[88:89]                                   // 0000000058F8: BEFE0158
	buffer_load_dword v39, v4, s[8:11], 0 idxen                // 0000000058FC: E0502000 80022704
	s_mov_b64 exec, s[86:87]                                   // 000000005904: BEFE0156
	v_mov_b32_e32 v44, 0                                       // 000000005908: 7E580280
	s_mov_b64 exec, s[88:89]                                   // 00000000590C: BEFE0158
	buffer_load_dword v44, v1, s[20:23], 0 idxen               // 000000005910: E0502000 80052C01
	s_mov_b64 exec, s[86:87]                                   // 000000005918: BEFE0156
	v_mov_b32_e32 v45, 0                                       // 00000000591C: 7E5A0280
	s_mov_b64 exec, s[88:89]                                   // 000000005920: BEFE0158
	buffer_load_dword v45, v2, s[20:23], 0 idxen               // 000000005924: E0502000 80052D02
	s_mov_b64 exec, s[86:87]                                   // 00000000592C: BEFE0156
	v_mov_b32_e32 v46, 0                                       // 000000005930: 7E5C0280
	s_mov_b64 exec, s[88:89]                                   // 000000005934: BEFE0158
	buffer_load_dword v46, v3, s[20:23], 0 idxen               // 000000005938: E0502000 80052E03
	s_mov_b64 exec, s[86:87]                                   // 000000005940: BEFE0156
	v_mov_b32_e32 v47, 0                                       // 000000005944: 7E5E0280
	s_mov_b64 exec, s[88:89]                                   // 000000005948: BEFE0158
	buffer_load_dword v47, v4, s[20:23], 0 idxen               // 00000000594C: E0502000 80052F04
	s_mov_b64 exec, s[86:87]                                   // 000000005954: BEFE0156
	s_waitcnt lgkmcnt(0)                                       // 000000005958: BF8CC07F
	s_barrier                                                  // 00000000595C: BF8A0000
	ds_read_b128 a[112:115], v24                               // 000000005960: DBFE0000 70000018
	ds_read_b128 a[116:119], v24 offset:512                    // 000000005968: DBFE0200 74000018
	ds_read_b128 a[120:123], v24 offset:2176                   // 000000005970: DBFE0880 78000018
	ds_read_b128 a[124:127], v24 offset:2688                   // 000000005978: DBFE0A80 7C000018
	s_add_u32 s8, s68, s8                                      // 000000005980: 80080844
	s_addc_u32 s9, 0, s9                                       // 000000005984: 82090980
	s_add_u32 s20, s68, s20                                    // 000000005988: 80141444
	s_addc_u32 s21, 0, s21                                     // 00000000598C: 82151580
	s_waitcnt vmcnt(16) lgkmcnt(0)                             // 000000005990: BF8C4070
	s_barrier                                                  // 000000005994: BF8A0000
	s_cmp_lt_i32 2, s73                                        // 000000005998: BF044982
	s_cbranch_scc1 label_06F8                                  // 00000000599C: BF850010
	v_mov_b32_e32 v184, 0                                      // 0000000059A0: 7F700280
	v_mov_b32_e32 v185, 0                                      // 0000000059A4: 7F720280
	v_mov_b32_e32 v186, 0                                      // 0000000059A8: 7F740280
	v_mov_b32_e32 v187, 0                                      // 0000000059AC: 7F760280
	v_mov_b32_e32 v188, 0                                      // 0000000059B0: 7F780280
	v_mov_b32_e32 v189, 0                                      // 0000000059B4: 7F7A0280
	v_mov_b32_e32 v190, 0                                      // 0000000059B8: 7F7C0280
	v_mov_b32_e32 v191, 0                                      // 0000000059BC: 7F7E0280
	v_mov_b32_e32 v192, 0                                      // 0000000059C0: 7F800280
	v_mov_b32_e32 v193, 0                                      // 0000000059C4: 7F820280
	v_mov_b32_e32 v194, 0                                      // 0000000059C8: 7F840280
	v_mov_b32_e32 v195, 0                                      // 0000000059CC: 7F860280
	v_mov_b32_e32 v196, 0                                      // 0000000059D0: 7F880280
	v_mov_b32_e32 v197, 0                                      // 0000000059D4: 7F8A0280
	v_mov_b32_e32 v198, 0                                      // 0000000059D8: 7F8C0280
	v_mov_b32_e32 v199, 0                                      // 0000000059DC: 7F8E0280

00000000000059e0 <label_06F8>:
	ds_write_b32 v13, v184                                     // 0000000059E0: D81A0000 0000B80D
	ds_write_b32 v13, v185 offset:1056                         // 0000000059E8: D81A0420 0000B90D
	ds_write_b32 v13, v186 offset:128                          // 0000000059F0: D81A0080 0000BA0D
	ds_write_b32 v13, v187 offset:1184                         // 0000000059F8: D81A04A0 0000BB0D
	ds_write_b32 v13, v188 offset:4352                         // 000000005A00: D81A1100 0000BC0D
	ds_write_b32 v13, v189 offset:5408                         // 000000005A08: D81A1520 0000BD0D
	ds_write_b32 v13, v190 offset:4480                         // 000000005A10: D81A1180 0000BE0D
	ds_write_b32 v13, v191 offset:5536                         // 000000005A18: D81A15A0 0000BF0D
	ds_write_b32 v13, v192 offset:8704                         // 000000005A20: D81A2200 0000C00D
	ds_write_b32 v13, v193 offset:9760                         // 000000005A28: D81A2620 0000C10D
	ds_write_b32 v13, v194 offset:8832                         // 000000005A30: D81A2280 0000C20D
	ds_write_b32 v13, v195 offset:9888                         // 000000005A38: D81A26A0 0000C30D
	ds_write_b32 v13, v196 offset:13056                        // 000000005A40: D81A3300 0000C40D
	ds_write_b32 v13, v197 offset:14112                        // 000000005A48: D81A3720 0000C50D
	ds_write_b32 v13, v198 offset:13184                        // 000000005A50: D81A3380 0000C60D
	ds_write_b32 v13, v199 offset:14240                        // 000000005A58: D81A37A0 0000C70D
	s_waitcnt lgkmcnt(0)                                       // 000000005A60: BF8CC07F
	s_barrier                                                  // 000000005A64: BF8A0000
	ds_read_b128 a[128:131], v24                               // 000000005A68: DBFE0000 80000018
	ds_read_b128 a[132:135], v24 offset:512                    // 000000005A70: DBFE0200 84000018
	ds_read_b128 a[136:139], v24 offset:2176                   // 000000005A78: DBFE0880 88000018
	ds_read_b128 a[140:143], v24 offset:2688                   // 000000005A80: DBFE0A80 8C000018
	s_waitcnt vmcnt(8) lgkmcnt(0)                              // 000000005A88: BF8C0078
	s_barrier                                                  // 000000005A8C: BF8A0000
	buffer_load_dword v11, s[24:27], 0 idxen lds               // 000000005A90: E0512000 8006000B
	s_mov_b32 m0, s77                                          // 000000005A98: BEFC004D
	v_add_u32_e32 v11, s69, v11                                // 000000005A9C: 68161645
	v_perm_b32 v84, v33, v32, s63                              // 000000005AA0: D1ED0054 00FE4121
	v_perm_b32 v85, v33, v32, s64                              // 000000005AA8: D1ED0055 01024121
	v_perm_b32 v86, v35, v34, s63                              // 000000005AB0: D1ED0056 00FE4523
	v_perm_b32 v87, v35, v34, s64                              // 000000005AB8: D1ED0057 01024523
	ds_write_b32 v15, v84 offset:4352                          // 000000005AC0: D81A1100 0000540F
	ds_write_b32 v15, v85 offset:5408                          // 000000005AC8: D81A1520 0000550F
	ds_write_b32 v15, v86 offset:4480                          // 000000005AD0: D81A1180 0000560F
	ds_write_b32 v15, v87 offset:5536                          // 000000005AD8: D81A15A0 0000570F
	ds_write_b32 v13, v32                                      // 000000005AE0: D81A0000 0000200D
	ds_write_b32 v13, v33 offset:1056                          // 000000005AE8: D81A0420 0000210D
	ds_write_b32 v13, v34 offset:128                           // 000000005AF0: D81A0080 0000220D
	ds_write_b32 v13, v35 offset:1184                          // 000000005AF8: D81A04A0 0000230D
	buffer_load_dword v11, s[24:27], 0 idxen lds               // 000000005B00: E0512000 8006000B
	s_mov_b32 m0, s76                                          // 000000005B08: BEFC004C
	v_add_u32_e32 v11, s69, v11                                // 000000005B0C: 68161645
	v_perm_b32 v88, v41, v40, s63                              // 000000005B10: D1ED0058 00FE5129
	v_perm_b32 v89, v41, v40, s64                              // 000000005B18: D1ED0059 01025129
	v_perm_b32 v90, v43, v42, s63                              // 000000005B20: D1ED005A 00FE552B
	v_perm_b32 v91, v43, v42, s64                              // 000000005B28: D1ED005B 0102552B
	ds_write_b32 v15, v88 offset:13056                         // 000000005B30: D81A3300 0000580F
	ds_write_b32 v15, v89 offset:14112                         // 000000005B38: D81A3720 0000590F
	ds_write_b32 v15, v90 offset:13184                         // 000000005B40: D81A3380 00005A0F
	ds_write_b32 v15, v91 offset:14240                         // 000000005B48: D81A37A0 00005B0F
	ds_write_b32 v13, v40 offset:8704                          // 000000005B50: D81A2200 0000280D
	ds_write_b32 v13, v41 offset:9760                          // 000000005B58: D81A2620 0000290D
	ds_write_b32 v13, v42 offset:8832                          // 000000005B60: D81A2280 00002A0D
	ds_write_b32 v13, v43 offset:9888                          // 000000005B68: D81A26A0 00002B0D
	s_waitcnt vmcnt(1) lgkmcnt(0)                              // 000000005B70: BF8C0071
	s_barrier                                                  // 000000005B74: BF8A0000
	ds_read_b128 a[144:147], v12                               // 000000005B78: DBFE0000 9000000C
	ds_read_b128 a[148:151], v12 offset:512                    // 000000005B80: DBFE0200 9400000C
	ds_read_b128 a[152:155], v12 offset:2176                   // 000000005B88: DBFE0880 9800000C
	ds_read_b128 a[156:159], v12 offset:2688                   // 000000005B90: DBFE0A80 9C00000C
	ds_read_b128 v[92:95], v12 offset:8704                     // 000000005B98: D9FE2200 5C00000C
	ds_read_b128 v[96:99], v12 offset:9216                     // 000000005BA0: D9FE2400 6000000C
	ds_read_b128 v[100:103], v12 offset:10880                  // 000000005BA8: D9FE2A80 6400000C
	ds_read_b128 v[104:107], v12 offset:11392                  // 000000005BB0: D9FE2C80 6800000C
	ds_read_b32 v124, v23 offset:50688                         // 000000005BB8: D86CC600 7C000017
	ds_read_b32 v150, v23 offset:50944                         // 000000005BC0: D86CC700 96000017
	v_accvgpr_write_b32 a160, 0                                // 000000005BC8: D3D940A0 18000080
	v_mov_b32_e32 v152, 0                                      // 000000005BD0: 7F300280
	v_accvgpr_write_b32 a161, 0                                // 000000005BD4: D3D940A1 18000080
	v_mov_b32_e32 v153, 0                                      // 000000005BDC: 7F320280
	v_accvgpr_write_b32 a162, 0                                // 000000005BE0: D3D940A2 18000080
	v_mov_b32_e32 v154, 0                                      // 000000005BE8: 7F340280
	v_accvgpr_write_b32 a163, 0                                // 000000005BEC: D3D940A3 18000080
	v_mov_b32_e32 v155, 0                                      // 000000005BF4: 7F360280
	v_accvgpr_write_b32 a164, 0                                // 000000005BF8: D3D940A4 18000080
	v_mov_b32_e32 v156, 0                                      // 000000005C00: 7F380280
	v_accvgpr_write_b32 a165, 0                                // 000000005C04: D3D940A5 18000080
	v_mov_b32_e32 v157, 0                                      // 000000005C0C: 7F3A0280
	v_accvgpr_write_b32 a166, 0                                // 000000005C10: D3D940A6 18000080
	v_mov_b32_e32 v158, 0                                      // 000000005C18: 7F3C0280
	v_accvgpr_write_b32 a167, 0                                // 000000005C1C: D3D940A7 18000080
	v_mov_b32_e32 v159, 0                                      // 000000005C24: 7F3E0280
	v_accvgpr_write_b32 a168, 0                                // 000000005C28: D3D940A8 18000080
	v_mov_b32_e32 v160, 0                                      // 000000005C30: 7F400280
	v_accvgpr_write_b32 a169, 0                                // 000000005C34: D3D940A9 18000080
	v_mov_b32_e32 v161, 0                                      // 000000005C3C: 7F420280
	v_accvgpr_write_b32 a170, 0                                // 000000005C40: D3D940AA 18000080
	v_mov_b32_e32 v162, 0                                      // 000000005C48: 7F440280
	v_accvgpr_write_b32 a171, 0                                // 000000005C4C: D3D940AB 18000080
	v_mov_b32_e32 v163, 0                                      // 000000005C54: 7F460280
	v_accvgpr_write_b32 a172, 0                                // 000000005C58: D3D940AC 18000080
	v_mov_b32_e32 v164, 0                                      // 000000005C60: 7F480280
	v_accvgpr_write_b32 a173, 0                                // 000000005C64: D3D940AD 18000080
	v_mov_b32_e32 v165, 0                                      // 000000005C6C: 7F4A0280
	v_accvgpr_write_b32 a174, 0                                // 000000005C70: D3D940AE 18000080
	v_mov_b32_e32 v166, 0                                      // 000000005C78: 7F4C0280
	v_accvgpr_write_b32 a175, 0                                // 000000005C7C: D3D940AF 18000080
	v_mov_b32_e32 v167, 0                                      // 000000005C84: 7F4E0280
	v_accvgpr_write_b32 a176, 0                                // 000000005C88: D3D940B0 18000080
	v_mov_b32_e32 v168, 0                                      // 000000005C90: 7F500280
	v_accvgpr_write_b32 a177, 0                                // 000000005C94: D3D940B1 18000080
	v_mov_b32_e32 v169, 0                                      // 000000005C9C: 7F520280
	v_accvgpr_write_b32 a178, 0                                // 000000005CA0: D3D940B2 18000080
	v_mov_b32_e32 v170, 0                                      // 000000005CA8: 7F540280
	v_accvgpr_write_b32 a179, 0                                // 000000005CAC: D3D940B3 18000080
	v_mov_b32_e32 v171, 0                                      // 000000005CB4: 7F560280
	v_accvgpr_write_b32 a180, 0                                // 000000005CB8: D3D940B4 18000080
	v_mov_b32_e32 v172, 0                                      // 000000005CC0: 7F580280
	v_accvgpr_write_b32 a181, 0                                // 000000005CC4: D3D940B5 18000080
	v_mov_b32_e32 v173, 0                                      // 000000005CCC: 7F5A0280
	v_accvgpr_write_b32 a182, 0                                // 000000005CD0: D3D940B6 18000080
	v_mov_b32_e32 v174, 0                                      // 000000005CD8: 7F5C0280
	v_accvgpr_write_b32 a183, 0                                // 000000005CDC: D3D940B7 18000080
	v_mov_b32_e32 v175, 0                                      // 000000005CE4: 7F5E0280
	v_accvgpr_write_b32 a184, 0                                // 000000005CE8: D3D940B8 18000080
	v_mov_b32_e32 v176, 0                                      // 000000005CF0: 7F600280
	v_accvgpr_write_b32 a185, 0                                // 000000005CF4: D3D940B9 18000080
	v_mov_b32_e32 v177, 0                                      // 000000005CFC: 7F620280
	v_accvgpr_write_b32 a186, 0                                // 000000005D00: D3D940BA 18000080
	v_mov_b32_e32 v178, 0                                      // 000000005D08: 7F640280
	v_accvgpr_write_b32 a187, 0                                // 000000005D0C: D3D940BB 18000080
	v_mov_b32_e32 v179, 0                                      // 000000005D14: 7F660280
	v_accvgpr_write_b32 a188, 0                                // 000000005D18: D3D940BC 18000080
	v_mov_b32_e32 v180, 0                                      // 000000005D20: 7F680280
	v_accvgpr_write_b32 a189, 0                                // 000000005D24: D3D940BD 18000080
	v_mov_b32_e32 v181, 0                                      // 000000005D2C: 7F6A0280
	v_accvgpr_write_b32 a190, 0                                // 000000005D30: D3D940BE 18000080
	v_mov_b32_e32 v182, 0                                      // 000000005D38: 7F6C0280
	v_accvgpr_write_b32 a191, 0                                // 000000005D3C: D3D940BF 18000080
	v_mov_b32_e32 v183, 0                                      // 000000005D44: 7F6E0280
	v_accvgpr_write_b32 a192, 0                                // 000000005D48: D3D940C0 18000080
	v_mov_b32_e32 v184, 0                                      // 000000005D50: 7F700280
	v_accvgpr_write_b32 a193, 0                                // 000000005D54: D3D940C1 18000080
	v_mov_b32_e32 v185, 0                                      // 000000005D5C: 7F720280
	v_accvgpr_write_b32 a194, 0                                // 000000005D60: D3D940C2 18000080
	v_mov_b32_e32 v186, 0                                      // 000000005D68: 7F740280
	v_accvgpr_write_b32 a195, 0                                // 000000005D6C: D3D940C3 18000080
	v_mov_b32_e32 v187, 0                                      // 000000005D74: 7F760280
	v_accvgpr_write_b32 a196, 0                                // 000000005D78: D3D940C4 18000080
	v_mov_b32_e32 v188, 0                                      // 000000005D80: 7F780280
	v_accvgpr_write_b32 a197, 0                                // 000000005D84: D3D940C5 18000080
	v_mov_b32_e32 v189, 0                                      // 000000005D8C: 7F7A0280
	v_accvgpr_write_b32 a198, 0                                // 000000005D90: D3D940C6 18000080
	v_mov_b32_e32 v190, 0                                      // 000000005D98: 7F7C0280
	v_accvgpr_write_b32 a199, 0                                // 000000005D9C: D3D940C7 18000080
	v_mov_b32_e32 v191, 0                                      // 000000005DA4: 7F7E0280
	v_accvgpr_write_b32 a200, 0                                // 000000005DA8: D3D940C8 18000080
	v_mov_b32_e32 v192, 0                                      // 000000005DB0: 7F800280
	v_accvgpr_write_b32 a201, 0                                // 000000005DB4: D3D940C9 18000080
	v_mov_b32_e32 v193, 0                                      // 000000005DBC: 7F820280
	v_accvgpr_write_b32 a202, 0                                // 000000005DC0: D3D940CA 18000080
	v_mov_b32_e32 v194, 0                                      // 000000005DC8: 7F840280
	v_accvgpr_write_b32 a203, 0                                // 000000005DCC: D3D940CB 18000080
	v_mov_b32_e32 v195, 0                                      // 000000005DD4: 7F860280
	v_accvgpr_write_b32 a204, 0                                // 000000005DD8: D3D940CC 18000080
	v_mov_b32_e32 v196, 0                                      // 000000005DE0: 7F880280
	v_accvgpr_write_b32 a205, 0                                // 000000005DE4: D3D940CD 18000080
	v_mov_b32_e32 v197, 0                                      // 000000005DEC: 7F8A0280
	v_accvgpr_write_b32 a206, 0                                // 000000005DF0: D3D940CE 18000080
	v_mov_b32_e32 v198, 0                                      // 000000005DF8: 7F8C0280
	v_accvgpr_write_b32 a207, 0                                // 000000005DFC: D3D940CF 18000080
	v_mov_b32_e32 v199, 0                                      // 000000005E04: 7F8E0280
	v_accvgpr_write_b32 a208, 0                                // 000000005E08: D3D940D0 18000080
	v_mov_b32_e32 v200, 0                                      // 000000005E10: 7F900280
	v_accvgpr_write_b32 a209, 0                                // 000000005E14: D3D940D1 18000080
	v_mov_b32_e32 v201, 0                                      // 000000005E1C: 7F920280
	v_accvgpr_write_b32 a210, 0                                // 000000005E20: D3D940D2 18000080
	v_mov_b32_e32 v202, 0                                      // 000000005E28: 7F940280
	v_accvgpr_write_b32 a211, 0                                // 000000005E2C: D3D940D3 18000080
	v_mov_b32_e32 v203, 0                                      // 000000005E34: 7F960280
	v_accvgpr_write_b32 a212, 0                                // 000000005E38: D3D940D4 18000080
	v_mov_b32_e32 v204, 0                                      // 000000005E40: 7F980280
	v_accvgpr_write_b32 a213, 0                                // 000000005E44: D3D940D5 18000080
	v_mov_b32_e32 v205, 0                                      // 000000005E4C: 7F9A0280
	v_accvgpr_write_b32 a214, 0                                // 000000005E50: D3D940D6 18000080
	v_mov_b32_e32 v206, 0                                      // 000000005E58: 7F9C0280
	v_accvgpr_write_b32 a215, 0                                // 000000005E5C: D3D940D7 18000080
	v_mov_b32_e32 v207, 0                                      // 000000005E64: 7F9E0280
	v_accvgpr_write_b32 a216, 0                                // 000000005E68: D3D940D8 18000080
	v_mov_b32_e32 v208, 0                                      // 000000005E70: 7FA00280
	v_accvgpr_write_b32 a217, 0                                // 000000005E74: D3D940D9 18000080
	v_mov_b32_e32 v209, 0                                      // 000000005E7C: 7FA20280
	v_accvgpr_write_b32 a218, 0                                // 000000005E80: D3D940DA 18000080
	v_mov_b32_e32 v210, 0                                      // 000000005E88: 7FA40280
	v_accvgpr_write_b32 a219, 0                                // 000000005E8C: D3D940DB 18000080
	v_mov_b32_e32 v211, 0                                      // 000000005E94: 7FA60280
	v_accvgpr_write_b32 a220, 0                                // 000000005E98: D3D940DC 18000080
	v_mov_b32_e32 v212, 0                                      // 000000005EA0: 7FA80280
	v_accvgpr_write_b32 a221, 0                                // 000000005EA4: D3D940DD 18000080
	v_mov_b32_e32 v213, 0                                      // 000000005EAC: 7FAA0280
	v_accvgpr_write_b32 a222, 0                                // 000000005EB0: D3D940DE 18000080
	v_mov_b32_e32 v214, 0                                      // 000000005EB8: 7FAC0280
	v_accvgpr_write_b32 a223, 0                                // 000000005EBC: D3D940DF 18000080
	v_mov_b32_e32 v215, 0                                      // 000000005EC4: 7FAE0280
	v_accvgpr_write_b32 a224, 0                                // 000000005EC8: D3D940E0 18000080
	v_mov_b32_e32 v216, 0                                      // 000000005ED0: 7FB00280
	v_accvgpr_write_b32 a225, 0                                // 000000005ED4: D3D940E1 18000080
	v_mov_b32_e32 v217, 0                                      // 000000005EDC: 7FB20280
	v_accvgpr_write_b32 a226, 0                                // 000000005EE0: D3D940E2 18000080
	v_mov_b32_e32 v218, 0                                      // 000000005EE8: 7FB40280
	v_accvgpr_write_b32 a227, 0                                // 000000005EEC: D3D940E3 18000080
	v_mov_b32_e32 v219, 0                                      // 000000005EF4: 7FB60280
	v_accvgpr_write_b32 a228, 0                                // 000000005EF8: D3D940E4 18000080
	v_mov_b32_e32 v220, 0                                      // 000000005F00: 7FB80280
	v_accvgpr_write_b32 a229, 0                                // 000000005F04: D3D940E5 18000080
	v_mov_b32_e32 v221, 0                                      // 000000005F0C: 7FBA0280
	v_accvgpr_write_b32 a230, 0                                // 000000005F10: D3D940E6 18000080
	v_mov_b32_e32 v222, 0                                      // 000000005F18: 7FBC0280
	v_accvgpr_write_b32 a231, 0                                // 000000005F1C: D3D940E7 18000080
	v_mov_b32_e32 v223, 0                                      // 000000005F24: 7FBE0280
	v_accvgpr_write_b32 a232, 0                                // 000000005F28: D3D940E8 18000080
	v_mov_b32_e32 v224, 0                                      // 000000005F30: 7FC00280
	v_accvgpr_write_b32 a233, 0                                // 000000005F34: D3D940E9 18000080
	v_mov_b32_e32 v225, 0                                      // 000000005F3C: 7FC20280
	v_accvgpr_write_b32 a234, 0                                // 000000005F40: D3D940EA 18000080
	v_mov_b32_e32 v226, 0                                      // 000000005F48: 7FC40280
	v_accvgpr_write_b32 a235, 0                                // 000000005F4C: D3D940EB 18000080
	v_mov_b32_e32 v227, 0                                      // 000000005F54: 7FC60280
	v_accvgpr_write_b32 a236, 0                                // 000000005F58: D3D940EC 18000080
	v_mov_b32_e32 v228, 0                                      // 000000005F60: 7FC80280
	v_accvgpr_write_b32 a237, 0                                // 000000005F64: D3D940ED 18000080
	v_mov_b32_e32 v229, 0                                      // 000000005F6C: 7FCA0280
	v_accvgpr_write_b32 a238, 0                                // 000000005F70: D3D940EE 18000080
	v_mov_b32_e32 v230, 0                                      // 000000005F78: 7FCC0280
	v_accvgpr_write_b32 a239, 0                                // 000000005F7C: D3D940EF 18000080
	v_mov_b32_e32 v231, 0                                      // 000000005F84: 7FCE0280
	v_accvgpr_write_b32 a240, 0                                // 000000005F88: D3D940F0 18000080
	v_mov_b32_e32 v232, 0                                      // 000000005F90: 7FD00280
	v_accvgpr_write_b32 a241, 0                                // 000000005F94: D3D940F1 18000080
	v_mov_b32_e32 v233, 0                                      // 000000005F9C: 7FD20280
	v_accvgpr_write_b32 a242, 0                                // 000000005FA0: D3D940F2 18000080
	v_mov_b32_e32 v234, 0                                      // 000000005FA8: 7FD40280
	v_accvgpr_write_b32 a243, 0                                // 000000005FAC: D3D940F3 18000080
	v_mov_b32_e32 v235, 0                                      // 000000005FB4: 7FD60280
	v_accvgpr_write_b32 a244, 0                                // 000000005FB8: D3D940F4 18000080
	v_mov_b32_e32 v236, 0                                      // 000000005FC0: 7FD80280
	v_accvgpr_write_b32 a245, 0                                // 000000005FC4: D3D940F5 18000080
	v_mov_b32_e32 v237, 0                                      // 000000005FCC: 7FDA0280
	v_accvgpr_write_b32 a246, 0                                // 000000005FD0: D3D940F6 18000080
	v_mov_b32_e32 v238, 0                                      // 000000005FD8: 7FDC0280
	v_accvgpr_write_b32 a247, 0                                // 000000005FDC: D3D940F7 18000080
	v_mov_b32_e32 v239, 0                                      // 000000005FE4: 7FDE0280
	v_accvgpr_write_b32 a248, 0                                // 000000005FE8: D3D940F8 18000080
	v_mov_b32_e32 v240, 0                                      // 000000005FF0: 7FE00280
	v_accvgpr_write_b32 a249, 0                                // 000000005FF4: D3D940F9 18000080
	v_mov_b32_e32 v241, 0                                      // 000000005FFC: 7FE20280
	v_accvgpr_write_b32 a250, 0                                // 000000006000: D3D940FA 18000080
	v_mov_b32_e32 v242, 0                                      // 000000006008: 7FE40280
	v_accvgpr_write_b32 a251, 0                                // 00000000600C: D3D940FB 18000080
	v_mov_b32_e32 v243, 0                                      // 000000006014: 7FE60280
	v_accvgpr_write_b32 a252, 0                                // 000000006018: D3D940FC 18000080
	v_mov_b32_e32 v244, 0                                      // 000000006020: 7FE80280
	v_accvgpr_write_b32 a253, 0                                // 000000006024: D3D940FD 18000080
	v_mov_b32_e32 v245, 0                                      // 00000000602C: 7FEA0280
	v_accvgpr_write_b32 a254, 0                                // 000000006030: D3D940FE 18000080
	v_mov_b32_e32 v246, 0                                      // 000000006038: 7FEC0280
	v_accvgpr_write_b32 a255, 0                                // 00000000603C: D3D940FF 18000080
	v_mov_b32_e32 v247, 0                                      // 000000006044: 7FEE0280
	v_mov_b32_e32 v136, 0                                      // 000000006048: 7F100280
	v_mov_b32_e32 v137, 0                                      // 00000000604C: 7F120280
	v_mov_b32_e32 v138, 0                                      // 000000006050: 7F140280
	v_mov_b32_e32 v139, 0                                      // 000000006054: 7F160280
	v_mov_b32_e32 v140, 0                                      // 000000006058: 7F180280
	v_mov_b32_e32 v141, 0                                      // 00000000605C: 7F1A0280
	v_mov_b32_e32 v142, 0                                      // 000000006060: 7F1C0280
	v_mov_b32_e32 v143, 0                                      // 000000006064: 7F1E0280
	v_mov_b32_e32 v128, 0                                      // 000000006068: 7F000280
	v_mov_b32_e32 v129, 0                                      // 00000000606C: 7F020280
	v_mov_b32_e32 v130, 0                                      // 000000006070: 7F040280
	v_mov_b32_e32 v131, 0                                      // 000000006074: 7F060280
	v_mov_b32_e32 v132, 0                                      // 000000006078: 7F080280
	v_mov_b32_e32 v133, 0                                      // 00000000607C: 7F0A0280
	v_mov_b32_e32 v134, 0                                      // 000000006080: 7F0C0280
	v_mov_b32_e32 v135, 0                                      // 000000006084: 7F0E0280
	s_waitcnt lgkmcnt(0)                                       // 000000006088: BF8CC07F
	s_barrier                                                  // 00000000608C: BF8A0000
	v_mov_b32_e32 v32, 0                                       // 000000006090: 7E400280
	s_mov_b64 exec, s[88:89]                                   // 000000006094: BEFE0158
	buffer_load_dword v32, v1, s[8:11], 0 idxen                // 000000006098: E0502000 80022001
	s_mov_b64 exec, s[86:87]                                   // 0000000060A0: BEFE0156
	v_mov_b32_e32 v33, 0                                       // 0000000060A4: 7E420280
	s_mov_b64 exec, s[88:89]                                   // 0000000060A8: BEFE0158
	buffer_load_dword v33, v2, s[8:11], 0 idxen                // 0000000060AC: E0502000 80022102
	s_mov_b64 exec, s[86:87]                                   // 0000000060B4: BEFE0156
	v_mov_b32_e32 v34, 0                                       // 0000000060B8: 7E440280
	s_mov_b64 exec, s[88:89]                                   // 0000000060BC: BEFE0158
	buffer_load_dword v34, v3, s[8:11], 0 idxen                // 0000000060C0: E0502000 80022203
	s_mov_b64 exec, s[86:87]                                   // 0000000060C8: BEFE0156
	v_mov_b32_e32 v35, 0                                       // 0000000060CC: 7E460280
	s_mov_b64 exec, s[88:89]                                   // 0000000060D0: BEFE0158
	buffer_load_dword v35, v4, s[8:11], 0 idxen                // 0000000060D4: E0502000 80022304
	s_mov_b64 exec, s[86:87]                                   // 0000000060DC: BEFE0156
	v_mov_b32_e32 v40, 0                                       // 0000000060E0: 7E500280
	s_mov_b64 exec, s[88:89]                                   // 0000000060E4: BEFE0158
	buffer_load_dword v40, v1, s[20:23], 0 idxen               // 0000000060E8: E0502000 80052801
	s_mov_b64 exec, s[86:87]                                   // 0000000060F0: BEFE0156
	v_mov_b32_e32 v41, 0                                       // 0000000060F4: 7E520280
	s_mov_b64 exec, s[88:89]                                   // 0000000060F8: BEFE0158
	buffer_load_dword v41, v2, s[20:23], 0 idxen               // 0000000060FC: E0502000 80052902
	s_mov_b64 exec, s[86:87]                                   // 000000006104: BEFE0156
	v_mov_b32_e32 v42, 0                                       // 000000006108: 7E540280
	s_mov_b64 exec, s[88:89]                                   // 00000000610C: BEFE0158
	buffer_load_dword v42, v3, s[20:23], 0 idxen               // 000000006110: E0502000 80052A03
	s_mov_b64 exec, s[86:87]                                   // 000000006118: BEFE0156
	v_mov_b32_e32 v43, 0                                       // 00000000611C: 7E560280
	s_mov_b64 exec, s[88:89]                                   // 000000006120: BEFE0158
	buffer_load_dword v43, v4, s[20:23], 0 idxen               // 000000006124: E0502000 80052B04
	s_mov_b64 exec, s[86:87]                                   // 00000000612C: BEFE0156
	buffer_load_dword v11, s[24:27], 0 idxen lds               // 000000006130: E0512000 8006000B
	s_mov_b32 m0, s77                                          // 000000006138: BEFC004D
	v_add_u32_e32 v11, s69, v11                                // 00000000613C: 68161645
	s_add_u32 s8, s68, s8                                      // 000000006140: 80080844
	s_addc_u32 s9, 0, s9                                       // 000000006144: 82090980
	s_add_u32 s20, s68, s20                                    // 000000006148: 80141444
	s_addc_u32 s21, 0, s21                                     // 00000000614C: 82151580
	v_mul_f32_e32 v124, s49, v124                              // 000000006150: 0AF8F831
	v_perm_b32 v84, v37, v36, s63                              // 000000006154: D1ED0054 00FE4925
	v_perm_b32 v85, v37, v36, s64                              // 00000000615C: D1ED0055 01024925
	v_perm_b32 v86, v39, v38, s63                              // 000000006164: D1ED0056 00FE4D27
	v_perm_b32 v87, v39, v38, s64                              // 00000000616C: D1ED0057 01024D27
	v_perm_b32 v88, v45, v44, s63                              // 000000006174: D1ED0058 00FE592D
	v_perm_b32 v89, v45, v44, s64                              // 00000000617C: D1ED0059 0102592D
	v_perm_b32 v90, v47, v46, s63                              // 000000006184: D1ED005A 00FE5D2F
	v_perm_b32 v91, v47, v46, s64                              // 00000000618C: D1ED005B 01025D2F
	v_mov_b32_dpp v127, v124 quad_perm:[3,3,3,3] row_mask:0xf bank_mask:0xf// 000000006194: 7EFE02FA FF00FF7C
	v_mov_b32_dpp v126, v124 quad_perm:[2,2,2,2] row_mask:0xf bank_mask:0xf// 00000000619C: 7EFC02FA FF00AA7C
	v_mov_b32_dpp v125, v124 quad_perm:[1,1,1,1] row_mask:0xf bank_mask:0xf// 0000000061A4: 7EFA02FA FF00557C
	v_mov_b32_dpp v124, v124 quad_perm:[0,0,0,0] row_mask:0xf bank_mask:0xf// 0000000061AC: 7EF802FA FF00007C
	s_waitcnt vmcnt(9)                                         // 0000000061B4: BF8C0F79
	s_barrier                                                  // 0000000061B8: BF8A0000
	s_cmp_lt_i32 s47, 2                                        // 0000000061BC: BF04822F
	s_cbranch_scc0 label_0F3A                                  // 0000000061C0: BF840649
	s_nop 0                                                    // 0000000061C4: BF800000
	s_nop 0                                                    // 0000000061C8: BF800000
	s_nop 0                                                    // 0000000061CC: BF800000

00000000000061d0 <label_08F4>:
	s_waitcnt lgkmcnt(4)                                       // 0000000061D0: BF8CC47F
	s_barrier                                                  // 0000000061D4: BF8A0000
	v_mfma_f32_16x16x16_bf16 v[48:51], a[144:145], a[0:1], 0   // 0000000061D8: D3E10030 1A020190
	ds_write_b32 v13, v44 offset:8704                          // 0000000061E0: D81A2200 00002C0D
	ds_write_b32 v13, v45 offset:9760                          // 0000000061E8: D81A2620 00002D0D
	v_mfma_f32_16x16x16_bf16 v[48:51], a[146:147], a[2:3], v[48:51]// 0000000061F0: D3E10030 1CC20592
	v_mul_f32_e32 v128, s48, v128                              // 0000000061F8: 0B010030
	v_mul_f32_e32 v129, s48, v129                              // 0000000061FC: 0B030230
	v_mfma_f32_16x16x16_bf16 v[48:51], a[148:149], a[4:5], v[48:51]// 000000006200: D3E10030 1CC20994
	ds_write_b32 v13, v46 offset:8832                          // 000000006208: D81A2280 00002E0D
	ds_write_b32 v13, v47 offset:9888                          // 000000006210: D81A26A0 00002F0D
	v_mfma_f32_16x16x16_bf16 v[48:51], a[150:151], a[6:7], v[48:51]// 000000006218: D3E10030 1CC20D96
	v_mul_f32_e32 v130, s48, v130                              // 000000006220: 0B050430
	v_mul_f32_e32 v131, s48, v131                              // 000000006224: 0B070630
	v_mfma_f32_16x16x16_bf16 v[48:51], a[152:153], a[8:9], v[48:51]// 000000006228: D3E10030 1CC21198
	v_mul_f32_e32 v132, s48, v132                              // 000000006230: 0B090830
	v_mul_f32_e32 v133, s48, v133                              // 000000006234: 0B0B0A30
	v_mfma_f32_16x16x16_bf16 v[48:51], a[154:155], a[10:11], v[48:51]// 000000006238: D3E10030 1CC2159A
	v_mul_f32_e32 v134, s48, v134                              // 000000006240: 0B0D0C30
	v_mul_f32_e32 v135, s48, v135                              // 000000006244: 0B0F0E30
	v_mfma_f32_16x16x16_bf16 v[48:51], a[156:157], a[12:13], v[48:51]// 000000006248: D3E10030 1CC2199C
	v_cmp_u_f32_e64 s[74:75], v128, v128                       // 000000006250: D048004A 00030180
	v_add3_u32 v248, v128, v251, 1                             // 000000006258: D1FF00F8 0207F780
	v_cndmask_b32_e64 v28, v248, v250, s[74:75]                // 000000006260: D100001C 012BF5F8
	v_cmp_u_f32_e64 s[74:75], v129, v129                       // 000000006268: D048004A 00030381
	v_add3_u32 v248, v129, v251, 1                             // 000000006270: D1FF00F8 0207F781
	v_cndmask_b32_e64 v29, v248, v250, s[74:75]                // 000000006278: D100001D 012BF5F8
	v_perm_b32 v128, v29, v28, s64                             // 000000006280: D1ED0080 0102391D
	v_cmp_u_f32_e64 s[74:75], v130, v130                       // 000000006288: D048004A 00030582
	v_add3_u32 v248, v130, v251, 1                             // 000000006290: D1FF00F8 0207F782
	v_cndmask_b32_e64 v28, v248, v250, s[74:75]                // 000000006298: D100001C 012BF5F8
	v_cmp_u_f32_e64 s[74:75], v131, v131                       // 0000000062A0: D048004A 00030783
	v_add3_u32 v248, v131, v251, 1                             // 0000000062A8: D1FF00F8 0207F783
	v_cndmask_b32_e64 v29, v248, v250, s[74:75]                // 0000000062B0: D100001D 012BF5F8
	v_perm_b32 v129, v29, v28, s64                             // 0000000062B8: D1ED0081 0102391D
	v_mfma_f32_16x16x16_bf16 v[48:51], a[158:159], a[14:15], v[48:51]// 0000000062C0: D3E10030 1CC21D9E
	v_cmp_u_f32_e64 s[74:75], v132, v132                       // 0000000062C8: D048004A 00030984
	v_add3_u32 v248, v132, v251, 1                             // 0000000062D0: D1FF00F8 0207F784
	v_cndmask_b32_e64 v28, v248, v250, s[74:75]                // 0000000062D8: D100001C 012BF5F8
	v_cmp_u_f32_e64 s[74:75], v133, v133                       // 0000000062E0: D048004A 00030B85
	v_add3_u32 v248, v133, v251, 1                             // 0000000062E8: D1FF00F8 0207F785
	v_cndmask_b32_e64 v29, v248, v250, s[74:75]                // 0000000062F0: D100001D 012BF5F8
	v_perm_b32 v130, v29, v28, s64                             // 0000000062F8: D1ED0082 0102391D
	v_cmp_u_f32_e64 s[74:75], v134, v134                       // 000000006300: D048004A 00030D86
	v_add3_u32 v248, v134, v251, 1                             // 000000006308: D1FF00F8 0207F786
	v_cndmask_b32_e64 v28, v248, v250, s[74:75]                // 000000006310: D100001C 012BF5F8
	v_cmp_u_f32_e64 s[74:75], v135, v135                       // 000000006318: D048004A 00030F87
	v_add3_u32 v248, v135, v251, 1                             // 000000006320: D1FF00F8 0207F787
	v_cndmask_b32_e64 v29, v248, v250, s[74:75]                // 000000006328: D100001D 012BF5F8
	v_perm_b32 v131, v29, v28, s64                             // 000000006330: D1ED0083 0102391D
	v_mfma_f32_16x16x16_bf16 v[52:55], a[144:145], a[16:17], 0 // 000000006338: D3E10034 1A022190
	ds_write_b64 v22, v[128:129] offset:24320                  // 000000006340: D89A5F00 00008016
	v_mfma_f32_16x16x16_bf16 v[52:55], a[146:147], a[18:19], v[52:55]// 000000006348: D3E10034 1CD22592
	v_mfma_f32_16x16x16_bf16 v[52:55], a[148:149], a[20:21], v[52:55]// 000000006350: D3E10034 1CD22994
	ds_write_b64 v22, v[130:131] offset:24864                  // 000000006358: D89A6120 00008216
	v_mfma_f32_16x16x16_bf16 v[52:55], a[150:151], a[22:23], v[52:55]// 000000006360: D3E10034 1CD22D96
	v_mfma_f32_16x16x16_bf16 v[52:55], a[152:153], a[24:25], v[52:55]// 000000006368: D3E10034 1CD23198
	ds_read_b128 v[108:111], v14 offset:13056                  // 000000006370: D9FE3300 6C00000E
	ds_write_b32 v13, v36                                      // 000000006378: D81A0000 0000240D
	v_mfma_f32_16x16x16_bf16 v[52:55], a[154:155], a[26:27], v[52:55]// 000000006380: D3E10034 1CD2359A
	v_mfma_f32_16x16x16_bf16 v[52:55], a[156:157], a[28:29], v[52:55]// 000000006388: D3E10034 1CD2399C
	v_mfma_f32_16x16x16_bf16 v[52:55], a[158:159], a[30:31], v[52:55]// 000000006390: D3E10034 1CD23D9E
	ds_read_b128 v[112:115], v14 offset:13568                  // 000000006398: D9FE3500 7000000E
	ds_write_b32 v13, v37 offset:1056                          // 0000000063A0: D81A0420 0000250D
	v_mfma_f32_16x16x16_bf16 v[56:59], a[144:145], a[32:33], 0 // 0000000063A8: D3E10038 1A024190
	v_mfma_f32_16x16x16_bf16 v[56:59], a[146:147], a[34:35], v[56:59]// 0000000063B0: D3E10038 1CE24592
	v_mfma_f32_16x16x16_bf16 v[56:59], a[148:149], a[36:37], v[56:59]// 0000000063B8: D3E10038 1CE24994
	ds_read_b128 v[116:119], v14 offset:15232                  // 0000000063C0: D9FE3B80 7400000E
	ds_write_b32 v13, v38 offset:128                           // 0000000063C8: D81A0080 0000260D
	v_mfma_f32_16x16x16_bf16 v[56:59], a[150:151], a[38:39], v[56:59]// 0000000063D0: D3E10038 1CE24D96
	v_mfma_f32_16x16x16_bf16 v[56:59], a[152:153], a[40:41], v[56:59]// 0000000063D8: D3E10038 1CE25198
	v_mfma_f32_16x16x16_bf16 v[56:59], a[154:155], a[42:43], v[56:59]// 0000000063E0: D3E10038 1CE2559A
	ds_read_b128 v[120:123], v14 offset:15744                  // 0000000063E8: D9FE3D80 7800000E
	ds_write_b32 v13, v39 offset:1184                          // 0000000063F0: D81A04A0 0000270D
	v_mfma_f32_16x16x16_bf16 v[56:59], a[156:157], a[44:45], v[56:59]// 0000000063F8: D3E10038 1CE2599C
	v_mfma_f32_16x16x16_bf16 v[56:59], a[158:159], a[46:47], v[56:59]// 000000006400: D3E10038 1CE25D9E
	s_cmp_lt_i32 s73, 3                                        // 000000006408: BF048349
	s_cbranch_scc0 label_0993                                  // 00000000640C: BF84000F
	s_cmp_eq_i32 s73, 1                                        // 000000006410: BF008149
	s_cbranch_scc1 label_0989                                  // 000000006414: BF850003
	s_cmp_eq_i32 s73, 2                                        // 000000006418: BF008249
	s_cbranch_scc1 label_098E                                  // 00000000641C: BF850006
	s_branch label_0993                                        // 000000006420: BF82000A

0000000000006424 <label_0989>:
	v_mov_b32_e32 v52, v151                                    // 000000006424: 7E680397
	v_mov_b32_e32 v53, v151                                    // 000000006428: 7E6A0397
	v_mov_b32_e32 v54, v151                                    // 00000000642C: 7E6C0397
	v_mov_b32_e32 v55, v151                                    // 000000006430: 7E6E0397
	s_branch label_098E                                        // 000000006434: BF820000

0000000000006438 <label_098E>:
	v_mov_b32_e32 v56, v151                                    // 000000006438: 7E700397
	v_mov_b32_e32 v57, v151                                    // 00000000643C: 7E720397
	v_mov_b32_e32 v58, v151                                    // 000000006440: 7E740397
	v_mov_b32_e32 v59, v151                                    // 000000006444: 7E760397
	s_branch label_0993                                        // 000000006448: BF820000

000000000000644c <label_0993>:
	s_waitcnt lgkmcnt(8)                                       // 00000000644C: BF8CC87F
	s_barrier                                                  // 000000006450: BF8A0000
	v_mfma_f32_16x16x16_bf16 v[72:75], v[92:93], a[96:97], 0   // 000000006454: D3E10048 1202C15C
	ds_read_b128 a[144:147], v14 offset:4352                   // 00000000645C: DBFE1100 9000000E
	ds_read_b128 a[148:151], v14 offset:4864                   // 000000006464: DBFE1300 9400000E
	v_mfma_f32_16x16x16_bf16 v[72:75], v[94:95], a[98:99], v[72:75]// 00000000646C: D3E10048 1522C55E
	v_fma_f32 v48, v48, s57, -v124                             // 000000006474: D1CB0030 85F07330
	v_fma_f32 v49, v49, s57, -v125                             // 00000000647C: D1CB0031 85F47331
	v_fma_f32 v50, v50, s57, -v126                             // 000000006484: D1CB0032 85F87332
	v_mfma_f32_16x16x16_bf16 v[72:75], v[96:97], a[100:101], v[72:75]// 00000000648C: D3E10048 1522C960
	v_fma_f32 v51, v51, s57, -v127                             // 000000006494: D1CB0033 85FC7333
	v_fma_f32 v52, v52, s57, -v124                             // 00000000649C: D1CB0034 85F07334
	v_fma_f32 v53, v53, s57, -v125                             // 0000000064A4: D1CB0035 85F47335
	v_mfma_f32_16x16x16_bf16 v[72:75], v[98:99], a[102:103], v[72:75]// 0000000064AC: D3E10048 1522CD62
	v_fma_f32 v54, v54, s57, -v126                             // 0000000064B4: D1CB0036 85F87336
	v_fma_f32 v55, v55, s57, -v127                             // 0000000064BC: D1CB0037 85FC7337
	v_fma_f32 v56, v56, s57, -v124                             // 0000000064C4: D1CB0038 85F07338
	v_mfma_f32_16x16x16_bf16 v[72:75], v[100:101], a[104:105], v[72:75]// 0000000064CC: D3E10048 1522D164
	ds_read_b128 a[152:155], v14 offset:6528                   // 0000000064D4: DBFE1980 9800000E
	ds_read_b128 a[156:159], v14 offset:7040                   // 0000000064DC: DBFE1B80 9C00000E
	v_mfma_f32_16x16x16_bf16 v[72:75], v[102:103], a[106:107], v[72:75]// 0000000064E4: D3E10048 1522D566
	v_fma_f32 v57, v57, s57, -v125                             // 0000000064EC: D1CB0039 85F47339
	v_fma_f32 v58, v58, s57, -v126                             // 0000000064F4: D1CB003A 85F8733A
	v_fma_f32 v59, v59, s57, -v127                             // 0000000064FC: D1CB003B 85FC733B
	v_mfma_f32_16x16x16_bf16 v[72:75], v[104:105], a[108:109], v[72:75]// 000000006504: D3E10048 1522D968
	v_exp_f32_e32 v48, v48                                     // 00000000650C: 7E604130
	v_mfma_f32_16x16x16_bf16 v[72:75], v[106:107], a[110:111], v[72:75]// 000000006510: D3E10048 1522DD6A
	v_exp_f32_e32 v49, v49                                     // 000000006518: 7E624131
	v_mfma_f32_16x16x16_bf16 v[76:79], v[92:93], a[112:113], 0 // 00000000651C: D3E1004C 1202E15C
	ds_read_b32 v136, v21 offset:24320                         // 000000006524: D86C5F00 88000015
	ds_read_b32 v137, v21 offset:24336                         // 00000000652C: D86C5F10 89000015
	v_mfma_f32_16x16x16_bf16 v[76:79], v[94:95], a[114:115], v[76:79]// 000000006534: D3E1004C 1532E55E
	v_exp_f32_e32 v50, v50                                     // 00000000653C: 7E644132
	v_mfma_f32_16x16x16_bf16 v[76:79], v[96:97], a[116:117], v[76:79]// 000000006540: D3E1004C 1532E960
	ds_read_b32 v138, v21 offset:26496                         // 000000006548: D86C6780 8A000015
	ds_read_b32 v139, v21 offset:26512                         // 000000006550: D86C6790 8B000015
	v_mfma_f32_16x16x16_bf16 v[76:79], v[98:99], a[118:119], v[76:79]// 000000006558: D3E1004C 1532ED62
	v_exp_f32_e32 v51, v51                                     // 000000006560: 7E664133
	v_mfma_f32_16x16x16_bf16 v[76:79], v[100:101], a[120:121], v[76:79]// 000000006564: D3E1004C 1532F164
	v_exp_f32_e32 v52, v52                                     // 00000000656C: 7E684134
	v_mfma_f32_16x16x16_bf16 v[76:79], v[102:103], a[122:123], v[76:79]// 000000006570: D3E1004C 1532F566
	v_exp_f32_e32 v53, v53                                     // 000000006578: 7E6A4135
	v_mfma_f32_16x16x16_bf16 v[76:79], v[104:105], a[124:125], v[76:79]// 00000000657C: D3E1004C 1532F968
	v_exp_f32_e32 v54, v54                                     // 000000006584: 7E6C4136
	v_mfma_f32_16x16x16_bf16 v[76:79], v[106:107], a[126:127], v[76:79]// 000000006588: D3E1004C 1532FD6A
	v_exp_f32_e32 v55, v55                                     // 000000006590: 7E6E4137
	v_mfma_f32_16x16x16_bf16 v[80:83], v[92:93], a[128:129], 0 // 000000006594: D3E10050 1203015C
	v_exp_f32_e32 v56, v56                                     // 00000000659C: 7E704138
	v_mfma_f32_16x16x16_bf16 v[80:83], v[94:95], a[130:131], v[80:83]// 0000000065A0: D3E10050 1543055E
	v_exp_f32_e32 v57, v57                                     // 0000000065A8: 7E724139
	v_mfma_f32_16x16x16_bf16 v[80:83], v[96:97], a[132:133], v[80:83]// 0000000065AC: D3E10050 15430960
	v_exp_f32_e32 v58, v58                                     // 0000000065B4: 7E74413A
	v_mfma_f32_16x16x16_bf16 v[80:83], v[98:99], a[134:135], v[80:83]// 0000000065B8: D3E10050 15430D62
	v_exp_f32_e32 v59, v59                                     // 0000000065C0: 7E76413B
	v_mfma_f32_16x16x16_bf16 v[80:83], v[100:101], a[136:137], v[80:83]// 0000000065C4: D3E10050 15431164
	v_cmp_u_f32_e64 s[74:75], v48, v48                         // 0000000065CC: D048004A 00026130
	v_add3_u32 v248, v48, v251, 1                              // 0000000065D4: D1FF00F8 0207F730
	v_cndmask_b32_e64 v28, v248, v250, s[74:75]                // 0000000065DC: D100001C 012BF5F8
	v_cmp_u_f32_e64 s[74:75], v49, v49                         // 0000000065E4: D048004A 00026331
	v_add3_u32 v248, v49, v251, 1                              // 0000000065EC: D1FF00F8 0207F731
	v_cndmask_b32_e64 v29, v248, v250, s[74:75]                // 0000000065F4: D100001D 012BF5F8
	v_perm_b32 v144, v29, v28, s64                             // 0000000065FC: D1ED0090 0102391D
	v_cmp_u_f32_e64 s[74:75], v50, v50                         // 000000006604: D048004A 00026532
	v_add3_u32 v248, v50, v251, 1                              // 00000000660C: D1FF00F8 0207F732
	v_cndmask_b32_e64 v28, v248, v250, s[74:75]                // 000000006614: D100001C 012BF5F8
	v_cmp_u_f32_e64 s[74:75], v51, v51                         // 00000000661C: D048004A 00026733
	v_add3_u32 v248, v51, v251, 1                              // 000000006624: D1FF00F8 0207F733
	v_cndmask_b32_e64 v29, v248, v250, s[74:75]                // 00000000662C: D100001D 012BF5F8
	v_perm_b32 v145, v29, v28, s64                             // 000000006634: D1ED0091 0102391D
	v_cmp_u_f32_e64 s[74:75], v52, v52                         // 00000000663C: D048004A 00026934
	v_add3_u32 v248, v52, v251, 1                              // 000000006644: D1FF00F8 0207F734
	v_cndmask_b32_e64 v28, v248, v250, s[74:75]                // 00000000664C: D100001C 012BF5F8
	v_cmp_u_f32_e64 s[74:75], v53, v53                         // 000000006654: D048004A 00026B35
	v_add3_u32 v248, v53, v251, 1                              // 00000000665C: D1FF00F8 0207F735
	v_cndmask_b32_e64 v29, v248, v250, s[74:75]                // 000000006664: D100001D 012BF5F8
	v_perm_b32 v146, v29, v28, s64                             // 00000000666C: D1ED0092 0102391D
	v_mfma_f32_16x16x16_bf16 v[80:83], v[102:103], a[138:139], v[80:83]// 000000006674: D3E10050 15431566
	v_cmp_u_f32_e64 s[74:75], v54, v54                         // 00000000667C: D048004A 00026D36
	v_add3_u32 v248, v54, v251, 1                              // 000000006684: D1FF00F8 0207F736
	v_cndmask_b32_e64 v28, v248, v250, s[74:75]                // 00000000668C: D100001C 012BF5F8
	v_cmp_u_f32_e64 s[74:75], v55, v55                         // 000000006694: D048004A 00026F37
	v_add3_u32 v248, v55, v251, 1                              // 00000000669C: D1FF00F8 0207F737
	v_cndmask_b32_e64 v29, v248, v250, s[74:75]                // 0000000066A4: D100001D 012BF5F8
	v_perm_b32 v147, v29, v28, s64                             // 0000000066AC: D1ED0093 0102391D
	v_cmp_u_f32_e64 s[74:75], v56, v56                         // 0000000066B4: D048004A 00027138
	v_add3_u32 v248, v56, v251, 1                              // 0000000066BC: D1FF00F8 0207F738
	v_cndmask_b32_e64 v28, v248, v250, s[74:75]                // 0000000066C4: D100001C 012BF5F8
	v_cmp_u_f32_e64 s[74:75], v57, v57                         // 0000000066CC: D048004A 00027339
	v_add3_u32 v248, v57, v251, 1                              // 0000000066D4: D1FF00F8 0207F739
	v_cndmask_b32_e64 v29, v248, v250, s[74:75]                // 0000000066DC: D100001D 012BF5F8
	v_perm_b32 v148, v29, v28, s64                             // 0000000066E4: D1ED0094 0102391D
	v_cmp_u_f32_e64 s[74:75], v58, v58                         // 0000000066EC: D048004A 0002753A
	v_add3_u32 v248, v58, v251, 1                              // 0000000066F4: D1FF00F8 0207F73A
	v_cndmask_b32_e64 v28, v248, v250, s[74:75]                // 0000000066FC: D100001C 012BF5F8
	v_cmp_u_f32_e64 s[74:75], v59, v59                         // 000000006704: D048004A 0002773B
	v_add3_u32 v248, v59, v251, 1                              // 00000000670C: D1FF00F8 0207F73B
	v_cndmask_b32_e64 v29, v248, v250, s[74:75]                // 000000006714: D100001D 012BF5F8
	v_perm_b32 v149, v29, v28, s64                             // 00000000671C: D1ED0095 0102391D
	v_mfma_f32_16x16x16_bf16 v[80:83], v[104:105], a[140:141], v[80:83]// 000000006724: D3E10050 15431968
	s_add_u32 s32, s66, s32                                    // 00000000672C: 80202042
	s_addc_u32 s33, 0, s33                                     // 000000006730: 82212180
	v_mfma_f32_16x16x16_bf16 v[80:83], v[106:107], a[142:143], v[80:83]// 000000006734: D3E10050 15431D6A
	s_waitcnt lgkmcnt(0)                                       // 00000000673C: BF8CC07F
	s_barrier                                                  // 000000006740: BF8A0000
	v_mfma_f32_16x16x16_bf16 v[152:155], v[108:109], v[144:145], v[152:155]// 000000006744: D3E10098 0663216C
	v_subrev_f32_dpp v72, v150, v72 quad_perm:[0,0,0,0] row_mask:0xf bank_mask:0xf// 00000000674C: 069090FA FF000096
	v_subrev_f32_dpp v73, v150, v73 quad_perm:[1,1,1,1] row_mask:0xf bank_mask:0xf// 000000006754: 069292FA FF005596
	v_subrev_f32_dpp v74, v150, v74 quad_perm:[2,2,2,2] row_mask:0xf bank_mask:0xf// 00000000675C: 069494FA FF00AA96
	v_mfma_f32_16x16x16_bf16 v[156:159], v[110:111], v[144:145], v[156:159]// 000000006764: D3E1009C 0673216E
	v_subrev_f32_dpp v75, v150, v75 quad_perm:[3,3,3,3] row_mask:0xf bank_mask:0xf// 00000000676C: 069696FA FF00FF96
	v_subrev_f32_dpp v76, v150, v76 quad_perm:[0,0,0,0] row_mask:0xf bank_mask:0xf// 000000006774: 069898FA FF000096
	v_subrev_f32_dpp v77, v150, v77 quad_perm:[1,1,1,1] row_mask:0xf bank_mask:0xf// 00000000677C: 069A9AFA FF005596
	v_mfma_f32_16x16x16_bf16 v[160:163], v[112:113], v[144:145], v[160:163]// 000000006784: D3E100A0 06832170
	v_mul_f32_e32 v72, v48, v72                                // 00000000678C: 0A909130
	v_mul_f32_e32 v73, v49, v73                                // 000000006790: 0A929331
	v_mul_f32_e32 v74, v50, v74                                // 000000006794: 0A949532
	v_mfma_f32_16x16x16_bf16 v[164:167], v[114:115], v[144:145], v[164:167]// 000000006798: D3E100A4 06932172
	v_mul_f32_e32 v75, v51, v75                                // 0000000067A0: 0A969733
	v_mul_f32_e32 v76, v52, v76                                // 0000000067A4: 0A989934
	v_mul_f32_e32 v77, v53, v77                                // 0000000067A8: 0A9A9B35
	v_mfma_f32_16x16x16_bf16 v[168:171], v[116:117], v[144:145], v[168:171]// 0000000067AC: D3E100A8 06A32174
	v_cmp_u_f32_e64 s[74:75], v72, v72                         // 0000000067B4: D048004A 00029148
	v_add3_u32 v248, v72, v251, 1                              // 0000000067BC: D1FF00F8 0207F748
	v_cndmask_b32_e64 v28, v248, v250, s[74:75]                // 0000000067C4: D100001C 012BF5F8
	v_cmp_u_f32_e64 s[74:75], v73, v73                         // 0000000067CC: D048004A 00029349
	v_add3_u32 v248, v73, v251, 1                              // 0000000067D4: D1FF00F8 0207F749
	v_cndmask_b32_e64 v29, v248, v250, s[74:75]                // 0000000067DC: D100001D 012BF5F8
	v_perm_b32 v72, v29, v28, s64                              // 0000000067E4: D1ED0048 0102391D
	v_cmp_u_f32_e64 s[74:75], v74, v74                         // 0000000067EC: D048004A 0002954A
	v_add3_u32 v248, v74, v251, 1                              // 0000000067F4: D1FF00F8 0207F74A
	v_cndmask_b32_e64 v28, v248, v250, s[74:75]                // 0000000067FC: D100001C 012BF5F8
	v_cmp_u_f32_e64 s[74:75], v75, v75                         // 000000006804: D048004A 0002974B
	v_add3_u32 v248, v75, v251, 1                              // 00000000680C: D1FF00F8 0207F74B
	v_cndmask_b32_e64 v29, v248, v250, s[74:75]                // 000000006814: D100001D 012BF5F8
	v_perm_b32 v73, v29, v28, s64                              // 00000000681C: D1ED0049 0102391D
	v_cmp_u_f32_e64 s[74:75], v76, v76                         // 000000006824: D048004A 0002994C
	v_add3_u32 v248, v76, v251, 1                              // 00000000682C: D1FF00F8 0207F74C
	v_cndmask_b32_e64 v28, v248, v250, s[74:75]                // 000000006834: D100001C 012BF5F8
	v_cmp_u_f32_e64 s[74:75], v77, v77                         // 00000000683C: D048004A 00029B4D
	v_add3_u32 v248, v77, v251, 1                              // 000000006844: D1FF00F8 0207F74D
	v_cndmask_b32_e64 v29, v248, v250, s[74:75]                // 00000000684C: D100001D 012BF5F8
	v_perm_b32 v74, v29, v28, s64                              // 000000006854: D1ED004A 0102391D
	v_mfma_f32_16x16x16_bf16 v[172:175], v[118:119], v[144:145], v[172:175]// 00000000685C: D3E100AC 06B32176
	v_mov_b32_dpp v18, v72 quad_perm:[1,0,3,2] row_mask:0xf bank_mask:0xf// 000000006864: 7E2402FA FF00B148
	v_perm_b32 v48, v18, v72, v17                              // 00000000686C: D1ED0030 04469112
	v_mov_b32_dpp v18, v73 quad_perm:[1,0,3,2] row_mask:0xf bank_mask:0xf// 000000006874: 7E2402FA FF00B149
	v_mfma_f32_16x16x16_bf16 v[176:179], v[120:121], v[144:145], v[176:179]// 00000000687C: D3E100B0 06C32178
	v_perm_b32 v49, v18, v73, v17                              // 000000006884: D1ED0031 04469312
	v_mov_b32_dpp v18, v74 quad_perm:[1,0,3,2] row_mask:0xf bank_mask:0xf// 00000000688C: 7E2402FA FF00B14A
	v_perm_b32 v50, v18, v74, v17                              // 000000006894: D1ED0032 04469512
	v_mfma_f32_16x16x16_bf16 v[180:183], v[122:123], v[144:145], v[180:183]// 00000000689C: D3E100B4 06D3217A
	ds_write_b32 v20, v48 offset:17408                         // 0000000068A4: D81A4400 00003014
	v_mfma_f32_16x16x16_bf16 v[184:187], v[108:109], v[146:147], v[184:187]// 0000000068AC: D3E100B8 06E3256C
	v_subrev_f32_dpp v78, v150, v78 quad_perm:[2,2,2,2] row_mask:0xf bank_mask:0xf// 0000000068B4: 069C9CFA FF00AA96
	v_subrev_f32_dpp v79, v150, v79 quad_perm:[3,3,3,3] row_mask:0xf bank_mask:0xf// 0000000068BC: 069E9EFA FF00FF96
	v_subrev_f32_dpp v80, v150, v80 quad_perm:[0,0,0,0] row_mask:0xf bank_mask:0xf// 0000000068C4: 06A0A0FA FF000096
	v_mfma_f32_16x16x16_bf16 v[188:191], v[110:111], v[146:147], v[188:191]// 0000000068CC: D3E100BC 06F3256E
	ds_write_b32 v20, v49 offset:17952                         // 0000000068D4: D81A4620 00003114
	v_mfma_f32_16x16x16_bf16 v[192:195], v[112:113], v[146:147], v[192:195]// 0000000068DC: D3E100C0 07032570
	v_subrev_f32_dpp v81, v150, v81 quad_perm:[1,1,1,1] row_mask:0xf bank_mask:0xf// 0000000068E4: 06A2A2FA FF005596
	v_subrev_f32_dpp v82, v150, v82 quad_perm:[2,2,2,2] row_mask:0xf bank_mask:0xf// 0000000068EC: 06A4A4FA FF00AA96
	v_subrev_f32_dpp v83, v150, v83 quad_perm:[3,3,3,3] row_mask:0xf bank_mask:0xf// 0000000068F4: 06A6A6FA FF00FF96
	v_mfma_f32_16x16x16_bf16 v[196:199], v[114:115], v[146:147], v[196:199]// 0000000068FC: D3E100C4 07132572
	ds_write_b32 v20, v50 offset:19712                         // 000000006904: D81A4D00 00003214
	v_mfma_f32_16x16x16_bf16 v[200:203], v[116:117], v[146:147], v[200:203]// 00000000690C: D3E100C8 07232574
	v_mul_f32_e32 v78, v54, v78                                // 000000006914: 0A9C9D36
	v_mul_f32_e32 v79, v55, v79                                // 000000006918: 0A9E9F37
	v_mul_f32_e32 v80, v56, v80                                // 00000000691C: 0AA0A138
	v_mfma_f32_16x16x16_bf16 v[204:207], v[118:119], v[146:147], v[204:207]// 000000006920: D3E100CC 07332576
	v_mul_f32_e32 v81, v57, v81                                // 000000006928: 0AA2A339
	v_mul_f32_e32 v82, v58, v82                                // 00000000692C: 0AA4A53A
	v_mul_f32_e32 v83, v59, v83                                // 000000006930: 0AA6A73B
	v_mfma_f32_16x16x16_bf16 v[208:211], v[120:121], v[146:147], v[208:211]// 000000006934: D3E100D0 07432578
	v_cmp_u_f32_e64 s[74:75], v78, v78                         // 00000000693C: D048004A 00029D4E
	v_add3_u32 v248, v78, v251, 1                              // 000000006944: D1FF00F8 0207F74E
	v_cndmask_b32_e64 v28, v248, v250, s[74:75]                // 00000000694C: D100001C 012BF5F8
	v_cmp_u_f32_e64 s[74:75], v79, v79                         // 000000006954: D048004A 00029F4F
	v_add3_u32 v248, v79, v251, 1                              // 00000000695C: D1FF00F8 0207F74F
	v_cndmask_b32_e64 v29, v248, v250, s[74:75]                // 000000006964: D100001D 012BF5F8
	v_perm_b32 v75, v29, v28, s64                              // 00000000696C: D1ED004B 0102391D
	v_cmp_u_f32_e64 s[74:75], v80, v80                         // 000000006974: D048004A 0002A150
	v_add3_u32 v248, v80, v251, 1                              // 00000000697C: D1FF00F8 0207F750
	v_cndmask_b32_e64 v28, v248, v250, s[74:75]                // 000000006984: D100001C 012BF5F8
	v_cmp_u_f32_e64 s[74:75], v81, v81                         // 00000000698C: D048004A 0002A351
	v_add3_u32 v248, v81, v251, 1                              // 000000006994: D1FF00F8 0207F751
	v_cndmask_b32_e64 v29, v248, v250, s[74:75]                // 00000000699C: D100001D 012BF5F8
	v_perm_b32 v76, v29, v28, s64                              // 0000000069A4: D1ED004C 0102391D
	v_cmp_u_f32_e64 s[74:75], v82, v82                         // 0000000069AC: D048004A 0002A552
	v_add3_u32 v248, v82, v251, 1                              // 0000000069B4: D1FF00F8 0207F752
	v_cndmask_b32_e64 v28, v248, v250, s[74:75]                // 0000000069BC: D100001C 012BF5F8
	v_cmp_u_f32_e64 s[74:75], v83, v83                         // 0000000069C4: D048004A 0002A753
	v_add3_u32 v248, v83, v251, 1                              // 0000000069CC: D1FF00F8 0207F753
	v_cndmask_b32_e64 v29, v248, v250, s[74:75]                // 0000000069D4: D100001D 012BF5F8
	v_perm_b32 v77, v29, v28, s64                              // 0000000069DC: D1ED004D 0102391D
	v_mfma_f32_16x16x16_bf16 v[212:215], v[122:123], v[146:147], v[212:215]// 0000000069E4: D3E100D4 0753257A
	v_mov_b32_dpp v18, v75 quad_perm:[1,0,3,2] row_mask:0xf bank_mask:0xf// 0000000069EC: 7E2402FA FF00B14B
	v_perm_b32 v51, v18, v75, v17                              // 0000000069F4: D1ED0033 04469712
	v_mov_b32_dpp v18, v76 quad_perm:[1,0,3,2] row_mask:0xf bank_mask:0xf// 0000000069FC: 7E2402FA FF00B14C
	v_mfma_f32_16x16x16_bf16 v[216:219], v[108:109], v[148:149], v[216:219]// 000000006A04: D3E100D8 0763296C
	v_perm_b32 v52, v18, v76, v17                              // 000000006A0C: D1ED0034 04469912
	v_mov_b32_dpp v18, v77 quad_perm:[1,0,3,2] row_mask:0xf bank_mask:0xf// 000000006A14: 7E2402FA FF00B14D
	v_perm_b32 v53, v18, v77, v17                              // 000000006A1C: D1ED0035 04469B12
	v_mfma_f32_16x16x16_bf16 v[220:223], v[110:111], v[148:149], v[220:223]// 000000006A24: D3E100DC 0773296E
	ds_write_b32 v20, v51 offset:20256                         // 000000006A2C: D81A4F20 00003314
	v_mfma_f32_16x16x16_bf16 v[224:227], v[112:113], v[148:149], v[224:227]// 000000006A34: D3E100E0 07832970
	v_mfma_f32_16x16x16_bf16 v[228:231], v[114:115], v[148:149], v[228:231]// 000000006A3C: D3E100E4 07932972
	ds_write_b32 v20, v52 offset:22016                         // 000000006A44: D81A5600 00003414
	ds_write_b32 v20, v53 offset:22560                         // 000000006A4C: D81A5820 00003514
	v_mfma_f32_16x16x16_bf16 v[232:235], v[116:117], v[148:149], v[232:235]// 000000006A54: D3E100E8 07A32974
	v_mfma_f32_16x16x16_bf16 v[236:239], v[118:119], v[148:149], v[236:239]// 000000006A5C: D3E100EC 07B32976
	ds_write_b32 v15, v84 offset:4352                          // 000000006A64: D81A1100 0000540F
	ds_write_b32 v15, v85 offset:5408                          // 000000006A6C: D81A1520 0000550F
	v_mfma_f32_16x16x16_bf16 v[240:243], v[120:121], v[148:149], v[240:243]// 000000006A74: D3E100F0 07C32978
	s_nop 0                                                    // 000000006A7C: BF800000
	s_nop 0                                                    // 000000006A80: BF800000
	s_nop 0                                                    // 000000006A84: BF800000
	v_mfma_f32_16x16x16_bf16 v[244:247], v[122:123], v[148:149], v[244:247]// 000000006A88: D3E100F4 07D3297A
	ds_write_b32 v15, v86 offset:4480                          // 000000006A90: D81A1180 0000560F
	ds_write_b32 v15, v87 offset:5536                          // 000000006A98: D81A15A0 0000570F
	s_barrier                                                  // 000000006AA0: BF8A0000
	v_mfma_f32_16x16x16_bf16 a[160:163], a[144:145], v[72:73], a[160:163]// 000000006AA4: D3E180A0 0E829190
	global_atomic_pk_add_bf16 v6, v136, s[32:33]               // 000000006AAC: DD488000 00208806
	v_mfma_f32_16x16x16_bf16 a[164:167], a[146:147], v[72:73], a[164:167]// 000000006AB4: D3E180A4 0E929192
	ds_read_b32 v124, v23 offset:51200                         // 000000006ABC: D86CC800 7C000017
	ds_read_b32 v150, v23 offset:51456                         // 000000006AC4: D86CC900 96000017
	v_mfma_f32_16x16x16_bf16 a[168:171], a[148:149], v[72:73], a[168:171]// 000000006ACC: D3E180A8 0EA29194
	s_waitcnt lgkmcnt(6)                                       // 000000006AD4: BF8CC67F
	s_barrier                                                  // 000000006AD8: BF8A0000
	v_mfma_f32_16x16x16_bf16 a[172:175], a[150:151], v[72:73], a[172:175]// 000000006ADC: D3E180AC 0EB29196
	ds_read_b128 v[48:51], v19 offset:17408                    // 000000006AE4: D9FE4400 30000013
	v_mfma_f32_16x16x16_bf16 a[176:179], a[152:153], v[72:73], a[176:179]// 000000006AEC: D3E180B0 0EC29198
	v_mfma_f32_16x16x16_bf16 a[180:183], a[154:155], v[72:73], a[180:183]// 000000006AF4: D3E180B4 0ED2919A
	ds_read_b128 v[52:55], v19 offset:18560                    // 000000006AFC: D9FE4880 34000013
	v_mfma_f32_16x16x16_bf16 a[184:187], a[156:157], v[72:73], a[184:187]// 000000006B04: D3E180B8 0EE2919C
	global_atomic_pk_add_bf16 v8, v137, s[32:33]               // 000000006B0C: DD488000 00208908
	v_mfma_f32_16x16x16_bf16 a[188:191], a[158:159], v[72:73], a[188:191]// 000000006B14: D3E180BC 0EF2919E
	ds_read_b128 v[56:59], v19 offset:19712                    // 000000006B1C: D9FE4D00 38000013
	v_mfma_f32_16x16x16_bf16 a[192:195], a[144:145], v[74:75], a[192:195]// 000000006B24: D3E180C0 0F029590
	v_mfma_f32_16x16x16_bf16 a[196:199], a[146:147], v[74:75], a[196:199]// 000000006B2C: D3E180C4 0F129592
	ds_read_b128 v[60:63], v19 offset:20864                    // 000000006B34: D9FE5180 3C000013
	v_mfma_f32_16x16x16_bf16 a[200:203], a[148:149], v[74:75], a[200:203]// 000000006B3C: D3E180C8 0F229594
	v_mfma_f32_16x16x16_bf16 a[204:207], a[150:151], v[74:75], a[204:207]// 000000006B44: D3E180CC 0F329596
	ds_read_b128 v[64:67], v19 offset:22016                    // 000000006B4C: D9FE5600 40000013
	v_mfma_f32_16x16x16_bf16 a[208:211], a[152:153], v[74:75], a[208:211]// 000000006B54: D3E180D0 0F429598
	s_mov_b64 exec, s[92:93]                                   // 000000006B5C: BEFE015C
	global_atomic_pk_add_bf16 v6, v138, s[32:33] offset:128    // 000000006B60: DD488080 00208A06
	s_mov_b64 exec, s[86:87]                                   // 000000006B68: BEFE0156
	v_mfma_f32_16x16x16_bf16 a[212:215], a[154:155], v[74:75], a[212:215]// 000000006B6C: D3E180D4 0F52959A
	ds_read_b128 v[68:71], v19 offset:23168                    // 000000006B74: D9FE5A80 44000013
	v_mfma_f32_16x16x16_bf16 a[216:219], a[156:157], v[74:75], a[216:219]// 000000006B7C: D3E180D8 0F62959C
	v_mfma_f32_16x16x16_bf16 a[220:223], a[158:159], v[74:75], a[220:223]// 000000006B84: D3E180DC 0F72959E
	ds_write_b32 v15, v88 offset:13056                         // 000000006B8C: D81A3300 0000580F
	v_mfma_f32_16x16x16_bf16 a[224:227], a[144:145], v[76:77], a[224:227]// 000000006B94: D3E180E0 0F829990
	v_mfma_f32_16x16x16_bf16 a[228:231], a[146:147], v[76:77], a[228:231]// 000000006B9C: D3E180E4 0F929992
	ds_write_b32 v15, v89 offset:14112                         // 000000006BA4: D81A3720 0000590F
	v_mfma_f32_16x16x16_bf16 a[232:235], a[148:149], v[76:77], a[232:235]// 000000006BAC: D3E180E8 0FA29994
	s_mov_b64 exec, s[92:93]                                   // 000000006BB4: BEFE015C
	global_atomic_pk_add_bf16 v8, v139, s[32:33] offset:128    // 000000006BB8: DD488080 00208B08
	s_mov_b64 exec, s[86:87]                                   // 000000006BC0: BEFE0156
	v_mfma_f32_16x16x16_bf16 a[236:239], a[150:151], v[76:77], a[236:239]// 000000006BC4: D3E180EC 0FB29996
	ds_write_b32 v15, v90 offset:13184                         // 000000006BCC: D81A3380 00005A0F
	v_mfma_f32_16x16x16_bf16 a[240:243], a[152:153], v[76:77], a[240:243]// 000000006BD4: D3E180F0 0FC29998
	v_mfma_f32_16x16x16_bf16 a[244:247], a[154:155], v[76:77], a[244:247]// 000000006BDC: D3E180F4 0FD2999A
	ds_write_b32 v15, v91 offset:14240                         // 000000006BE4: D81A37A0 00005B0F
	v_mfma_f32_16x16x16_bf16 a[248:251], a[156:157], v[76:77], a[248:251]// 000000006BEC: D3E180F8 0FE2999C
	v_mfma_f32_16x16x16_bf16 a[252:255], a[158:159], v[76:77], a[252:255]// 000000006BF4: D3E180FC 0FF2999E
	s_waitcnt vmcnt(4) lgkmcnt(4)                              // 000000006BFC: BF8C0474
	s_barrier                                                  // 000000006C00: BF8A0000
	v_mfma_f32_16x16x16_bf16 v[128:131], a[48:49], v[48:49], 0 // 000000006C04: D3E10080 0A026130
	v_mul_f32_e32 v124, s49, v124                              // 000000006C0C: 0AF8F831
	s_nop 0                                                    // 000000006C10: BF800000
	v_mfma_f32_16x16x16_bf16 v[128:131], a[52:53], v[50:51], v[128:131]// 000000006C14: D3E10080 0E026534
	ds_read_b128 a[144:147], v12                               // 000000006C1C: DBFE0000 9000000C
	v_mov_b32_e32 v36, 0                                       // 000000006C24: 7E480280
	s_mov_b64 exec, s[88:89]                                   // 000000006C28: BEFE0158
	buffer_load_dword v36, v1, s[8:11], 0 idxen                // 000000006C2C: E0502000 80022401
	s_mov_b64 exec, s[86:87]                                   // 000000006C34: BEFE0156
	v_mfma_f32_16x16x16_bf16 v[128:131], a[56:57], v[52:53], v[128:131]// 000000006C38: D3E10080 0E026938
	v_mfma_f32_16x16x16_bf16 v[128:131], a[60:61], v[54:55], v[128:131]// 000000006C40: D3E10080 0E026D3C
	ds_read_b128 a[148:151], v12 offset:512                    // 000000006C48: DBFE0200 9400000C
	v_mov_b32_e32 v37, 0                                       // 000000006C50: 7E4A0280
	s_mov_b64 exec, s[88:89]                                   // 000000006C54: BEFE0158
	buffer_load_dword v37, v2, s[8:11], 0 idxen                // 000000006C58: E0502000 80022502
	s_mov_b64 exec, s[86:87]                                   // 000000006C60: BEFE0156
	v_mfma_f32_16x16x16_bf16 v[128:131], a[64:65], v[56:57], v[128:131]// 000000006C64: D3E10080 0E027140
	v_perm_b32 v84, v33, v32, s63                              // 000000006C6C: D1ED0054 00FE4121
	v_perm_b32 v85, v33, v32, s64                              // 000000006C74: D1ED0055 01024121
	v_mfma_f32_16x16x16_bf16 v[128:131], a[68:69], v[58:59], v[128:131]// 000000006C7C: D3E10080 0E027544
	ds_read_b128 a[152:155], v12 offset:2176                   // 000000006C84: DBFE0880 9800000C
	v_mov_b32_e32 v38, 0                                       // 000000006C8C: 7E4C0280
	s_mov_b64 exec, s[88:89]                                   // 000000006C90: BEFE0158
	buffer_load_dword v38, v3, s[8:11], 0 idxen                // 000000006C94: E0502000 80022603
	s_mov_b64 exec, s[86:87]                                   // 000000006C9C: BEFE0156
	v_mfma_f32_16x16x16_bf16 v[128:131], a[72:73], v[60:61], v[128:131]// 000000006CA0: D3E10080 0E027948
	v_perm_b32 v86, v35, v34, s63                              // 000000006CA8: D1ED0056 00FE4523
	v_perm_b32 v87, v35, v34, s64                              // 000000006CB0: D1ED0057 01024523
	v_mfma_f32_16x16x16_bf16 v[128:131], a[76:77], v[62:63], v[128:131]// 000000006CB8: D3E10080 0E027D4C
	ds_read_b128 a[156:159], v12 offset:2688                   // 000000006CC0: DBFE0A80 9C00000C
	v_mov_b32_e32 v39, 0                                       // 000000006CC8: 7E4E0280
	s_mov_b64 exec, s[88:89]                                   // 000000006CCC: BEFE0158
	buffer_load_dword v39, v4, s[8:11], 0 idxen                // 000000006CD0: E0502000 80022704
	s_mov_b64 exec, s[86:87]                                   // 000000006CD8: BEFE0156
	v_mfma_f32_16x16x16_bf16 v[128:131], a[80:81], v[64:65], v[128:131]// 000000006CDC: D3E10080 0E028150
	v_perm_b32 v88, v41, v40, s63                              // 000000006CE4: D1ED0058 00FE5129
	v_perm_b32 v89, v41, v40, s64                              // 000000006CEC: D1ED0059 01025129
	v_mfma_f32_16x16x16_bf16 v[128:131], a[84:85], v[66:67], v[128:131]// 000000006CF4: D3E10080 0E028554
	ds_read_b128 v[92:95], v12 offset:8704                     // 000000006CFC: D9FE2200 5C00000C
	v_mov_b32_e32 v44, 0                                       // 000000006D04: 7E580280
	s_mov_b64 exec, s[88:89]                                   // 000000006D08: BEFE0158
	buffer_load_dword v44, v1, s[20:23], 0 idxen               // 000000006D0C: E0502000 80052C01
	s_mov_b64 exec, s[86:87]                                   // 000000006D14: BEFE0156
	v_mfma_f32_16x16x16_bf16 v[128:131], a[88:89], v[68:69], v[128:131]// 000000006D18: D3E10080 0E028958
	v_perm_b32 v90, v43, v42, s63                              // 000000006D20: D1ED005A 00FE552B
	v_perm_b32 v91, v43, v42, s64                              // 000000006D28: D1ED005B 0102552B
	v_mfma_f32_16x16x16_bf16 v[128:131], a[92:93], v[70:71], v[128:131]// 000000006D30: D3E10080 0E028D5C
	ds_read_b128 v[96:99], v12 offset:9216                     // 000000006D38: D9FE2400 6000000C
	v_mov_b32_e32 v45, 0                                       // 000000006D40: 7E5A0280
	s_mov_b64 exec, s[88:89]                                   // 000000006D44: BEFE0158
	buffer_load_dword v45, v2, s[20:23], 0 idxen               // 000000006D48: E0502000 80052D02
	s_mov_b64 exec, s[86:87]                                   // 000000006D50: BEFE0156
	v_mfma_f32_16x16x16_bf16 v[132:135], a[50:51], v[48:49], 0 // 000000006D54: D3E10084 0A026132
	v_mov_b32_dpp v127, v124 quad_perm:[3,3,3,3] row_mask:0xf bank_mask:0xf// 000000006D5C: 7EFE02FA FF00FF7C
	v_mov_b32_dpp v126, v124 quad_perm:[2,2,2,2] row_mask:0xf bank_mask:0xf// 000000006D64: 7EFC02FA FF00AA7C
	v_mfma_f32_16x16x16_bf16 v[132:135], a[54:55], v[50:51], v[132:135]// 000000006D6C: D3E10084 0E126536
	ds_read_b128 v[100:103], v12 offset:10880                  // 000000006D74: D9FE2A80 6400000C
	v_mov_b32_e32 v46, 0                                       // 000000006D7C: 7E5C0280
	s_mov_b64 exec, s[88:89]                                   // 000000006D80: BEFE0158
	buffer_load_dword v46, v3, s[20:23], 0 idxen               // 000000006D84: E0502000 80052E03
	s_mov_b64 exec, s[86:87]                                   // 000000006D8C: BEFE0156
	v_mfma_f32_16x16x16_bf16 v[132:135], a[58:59], v[52:53], v[132:135]// 000000006D90: D3E10084 0E12693A
	v_mov_b32_dpp v125, v124 quad_perm:[1,1,1,1] row_mask:0xf bank_mask:0xf// 000000006D98: 7EFA02FA FF00557C
	v_mov_b32_dpp v124, v124 quad_perm:[0,0,0,0] row_mask:0xf bank_mask:0xf// 000000006DA0: 7EF802FA FF00007C
	s_add_u32 s60, 64, s59                                     // 000000006DA8: 803C3BC0
	v_mfma_f32_16x16x16_bf16 v[132:135], a[62:63], v[54:55], v[132:135]// 000000006DAC: D3E10084 0E126D3E
	ds_read_b128 v[104:107], v12 offset:11392                  // 000000006DB4: D9FE2C80 6800000C
	v_mov_b32_e32 v47, 0                                       // 000000006DBC: 7E5E0280
	s_mov_b64 exec, s[88:89]                                   // 000000006DC0: BEFE0158
	buffer_load_dword v47, v4, s[20:23], 0 idxen               // 000000006DC4: E0502000 80052F04
	s_mov_b64 exec, s[86:87]                                   // 000000006DCC: BEFE0156
	v_mfma_f32_16x16x16_bf16 v[132:135], a[66:67], v[56:57], v[132:135]// 000000006DD0: D3E10084 0E127142
	s_cmp_lt_u32 s60, s58                                      // 000000006DD8: BF0A3A3C
	s_cselect_b32 s68, s68, 0                                  // 000000006DDC: 85448044
	s_cselect_b32 s69, s69, 0                                  // 000000006DE0: 85458045
	v_mfma_f32_16x16x16_bf16 v[132:135], a[70:71], v[58:59], v[132:135]// 000000006DE4: D3E10084 0E127546
	buffer_load_dword v11, s[24:27], 0 idxen lds               // 000000006DEC: E0512000 8006000B
	v_mfma_f32_16x16x16_bf16 v[132:135], a[74:75], v[60:61], v[132:135]// 000000006DF4: D3E10084 0E12794A
	s_add_u32 s8, s68, s8                                      // 000000006DFC: 80080844
	s_addc_u32 s9, 0, s9                                       // 000000006E00: 82090980
	v_mfma_f32_16x16x16_bf16 v[132:135], a[78:79], v[62:63], v[132:135]// 000000006E04: D3E10084 0E127D4E
	s_add_u32 s20, s68, s20                                    // 000000006E0C: 80141444
	s_addc_u32 s21, 0, s21                                     // 000000006E10: 82151580
	v_mfma_f32_16x16x16_bf16 v[132:135], a[82:83], v[64:65], v[132:135]// 000000006E14: D3E10084 0E128152
	s_mov_b32 m0, s76                                          // 000000006E1C: BEFC004C
	v_add_u32_e32 v11, s69, v11                                // 000000006E20: 68161645
	v_mfma_f32_16x16x16_bf16 v[132:135], a[86:87], v[66:67], v[132:135]// 000000006E24: D3E10084 0E128556
	s_cmp_ge_u32 s59, 16                                       // 000000006E2C: BF09903B
	s_cselect_b32 s66, s67, s66                                // 000000006E30: 85424243
	v_mfma_f32_16x16x16_bf16 v[132:135], a[90:91], v[68:69], v[132:135]// 000000006E34: D3E10084 0E12895A
	s_addk_i32 s59, 0x10                                       // 000000006E3C: B73B0010
	s_nop 0                                                    // 000000006E40: BF800000
	s_cmp_lt_i32 s59, s58                                      // 000000006E44: BF043A3B
	v_mfma_f32_16x16x16_bf16 v[132:135], a[94:95], v[70:71], v[132:135]// 000000006E48: D3E10084 0E128D5E
	s_cbranch_scc0 label_0F37                                  // 000000006E50: BF840322
	s_waitcnt lgkmcnt(4)                                       // 000000006E54: BF8CC47F
	s_barrier                                                  // 000000006E58: BF8A0000
	v_mfma_f32_16x16x16_bf16 v[48:51], a[144:145], a[0:1], 0   // 000000006E5C: D3E10030 1A020190
	ds_write_b32 v13, v40 offset:8704                          // 000000006E64: D81A2200 0000280D
	ds_write_b32 v13, v41 offset:9760                          // 000000006E6C: D81A2620 0000290D
	v_mfma_f32_16x16x16_bf16 v[48:51], a[146:147], a[2:3], v[48:51]// 000000006E74: D3E10030 1CC20592
	v_mul_f32_e32 v128, s48, v128                              // 000000006E7C: 0B010030
	v_mul_f32_e32 v129, s48, v129                              // 000000006E80: 0B030230
	v_mfma_f32_16x16x16_bf16 v[48:51], a[148:149], a[4:5], v[48:51]// 000000006E84: D3E10030 1CC20994
	ds_write_b32 v13, v42 offset:8832                          // 000000006E8C: D81A2280 00002A0D
	ds_write_b32 v13, v43 offset:9888                          // 000000006E94: D81A26A0 00002B0D
	v_mfma_f32_16x16x16_bf16 v[48:51], a[150:151], a[6:7], v[48:51]// 000000006E9C: D3E10030 1CC20D96
	v_mul_f32_e32 v130, s48, v130                              // 000000006EA4: 0B050430
	v_mul_f32_e32 v131, s48, v131                              // 000000006EA8: 0B070630
	v_mfma_f32_16x16x16_bf16 v[48:51], a[152:153], a[8:9], v[48:51]// 000000006EAC: D3E10030 1CC21198
	v_mul_f32_e32 v132, s48, v132                              // 000000006EB4: 0B090830
	v_mul_f32_e32 v133, s48, v133                              // 000000006EB8: 0B0B0A30
	v_mfma_f32_16x16x16_bf16 v[48:51], a[154:155], a[10:11], v[48:51]// 000000006EBC: D3E10030 1CC2159A
	v_mul_f32_e32 v134, s48, v134                              // 000000006EC4: 0B0D0C30
	v_mul_f32_e32 v135, s48, v135                              // 000000006EC8: 0B0F0E30
	v_mfma_f32_16x16x16_bf16 v[48:51], a[156:157], a[12:13], v[48:51]// 000000006ECC: D3E10030 1CC2199C
	v_cmp_u_f32_e64 s[74:75], v128, v128                       // 000000006ED4: D048004A 00030180
	v_add3_u32 v248, v128, v251, 1                             // 000000006EDC: D1FF00F8 0207F780
	v_cndmask_b32_e64 v28, v248, v250, s[74:75]                // 000000006EE4: D100001C 012BF5F8
	v_cmp_u_f32_e64 s[74:75], v129, v129                       // 000000006EEC: D048004A 00030381
	v_add3_u32 v248, v129, v251, 1                             // 000000006EF4: D1FF00F8 0207F781
	v_cndmask_b32_e64 v29, v248, v250, s[74:75]                // 000000006EFC: D100001D 012BF5F8
	v_perm_b32 v128, v29, v28, s64                             // 000000006F04: D1ED0080 0102391D
	v_cmp_u_f32_e64 s[74:75], v130, v130                       // 000000006F0C: D048004A 00030582
	v_add3_u32 v248, v130, v251, 1                             // 000000006F14: D1FF00F8 0207F782
	v_cndmask_b32_e64 v28, v248, v250, s[74:75]                // 000000006F1C: D100001C 012BF5F8
	v_cmp_u_f32_e64 s[74:75], v131, v131                       // 000000006F24: D048004A 00030783
	v_add3_u32 v248, v131, v251, 1                             // 000000006F2C: D1FF00F8 0207F783
	v_cndmask_b32_e64 v29, v248, v250, s[74:75]                // 000000006F34: D100001D 012BF5F8
	v_perm_b32 v129, v29, v28, s64                             // 000000006F3C: D1ED0081 0102391D
	v_mfma_f32_16x16x16_bf16 v[48:51], a[158:159], a[14:15], v[48:51]// 000000006F44: D3E10030 1CC21D9E
	v_cmp_u_f32_e64 s[74:75], v132, v132                       // 000000006F4C: D048004A 00030984
	v_add3_u32 v248, v132, v251, 1                             // 000000006F54: D1FF00F8 0207F784
	v_cndmask_b32_e64 v28, v248, v250, s[74:75]                // 000000006F5C: D100001C 012BF5F8
	v_cmp_u_f32_e64 s[74:75], v133, v133                       // 000000006F64: D048004A 00030B85
	v_add3_u32 v248, v133, v251, 1                             // 000000006F6C: D1FF00F8 0207F785
	v_cndmask_b32_e64 v29, v248, v250, s[74:75]                // 000000006F74: D100001D 012BF5F8
	v_perm_b32 v130, v29, v28, s64                             // 000000006F7C: D1ED0082 0102391D
	v_cmp_u_f32_e64 s[74:75], v134, v134                       // 000000006F84: D048004A 00030D86
	v_add3_u32 v248, v134, v251, 1                             // 000000006F8C: D1FF00F8 0207F786
	v_cndmask_b32_e64 v28, v248, v250, s[74:75]                // 000000006F94: D100001C 012BF5F8
	v_cmp_u_f32_e64 s[74:75], v135, v135                       // 000000006F9C: D048004A 00030F87
	v_add3_u32 v248, v135, v251, 1                             // 000000006FA4: D1FF00F8 0207F787
	v_cndmask_b32_e64 v29, v248, v250, s[74:75]                // 000000006FAC: D100001D 012BF5F8
	v_perm_b32 v131, v29, v28, s64                             // 000000006FB4: D1ED0083 0102391D
	v_mfma_f32_16x16x16_bf16 v[52:55], a[144:145], a[16:17], 0 // 000000006FBC: D3E10034 1A022190
	ds_write_b64 v22, v[128:129] offset:24320                  // 000000006FC4: D89A5F00 00008016
	v_mfma_f32_16x16x16_bf16 v[52:55], a[146:147], a[18:19], v[52:55]// 000000006FCC: D3E10034 1CD22592
	v_mfma_f32_16x16x16_bf16 v[52:55], a[148:149], a[20:21], v[52:55]// 000000006FD4: D3E10034 1CD22994
	ds_write_b64 v22, v[130:131] offset:24864                  // 000000006FDC: D89A6120 00008216
	v_mfma_f32_16x16x16_bf16 v[52:55], a[150:151], a[22:23], v[52:55]// 000000006FE4: D3E10034 1CD22D96
	v_mfma_f32_16x16x16_bf16 v[52:55], a[152:153], a[24:25], v[52:55]// 000000006FEC: D3E10034 1CD23198
	ds_read_b128 v[108:111], v14 offset:13056                  // 000000006FF4: D9FE3300 6C00000E
	ds_write_b32 v13, v32                                      // 000000006FFC: D81A0000 0000200D
	v_mfma_f32_16x16x16_bf16 v[52:55], a[154:155], a[26:27], v[52:55]// 000000007004: D3E10034 1CD2359A
	v_mfma_f32_16x16x16_bf16 v[52:55], a[156:157], a[28:29], v[52:55]// 00000000700C: D3E10034 1CD2399C
	v_mfma_f32_16x16x16_bf16 v[52:55], a[158:159], a[30:31], v[52:55]// 000000007014: D3E10034 1CD23D9E
	ds_read_b128 v[112:115], v14 offset:13568                  // 00000000701C: D9FE3500 7000000E
	ds_write_b32 v13, v33 offset:1056                          // 000000007024: D81A0420 0000210D
	v_mfma_f32_16x16x16_bf16 v[56:59], a[144:145], a[32:33], 0 // 00000000702C: D3E10038 1A024190
	v_mfma_f32_16x16x16_bf16 v[56:59], a[146:147], a[34:35], v[56:59]// 000000007034: D3E10038 1CE24592
	v_mfma_f32_16x16x16_bf16 v[56:59], a[148:149], a[36:37], v[56:59]// 00000000703C: D3E10038 1CE24994
	ds_read_b128 v[116:119], v14 offset:15232                  // 000000007044: D9FE3B80 7400000E
	ds_write_b32 v13, v34 offset:128                           // 00000000704C: D81A0080 0000220D
	v_mfma_f32_16x16x16_bf16 v[56:59], a[150:151], a[38:39], v[56:59]// 000000007054: D3E10038 1CE24D96
	v_mfma_f32_16x16x16_bf16 v[56:59], a[152:153], a[40:41], v[56:59]// 00000000705C: D3E10038 1CE25198
	v_mfma_f32_16x16x16_bf16 v[56:59], a[154:155], a[42:43], v[56:59]// 000000007064: D3E10038 1CE2559A
	ds_read_b128 v[120:123], v14 offset:15744                  // 00000000706C: D9FE3D80 7800000E
	ds_write_b32 v13, v35 offset:1184                          // 000000007074: D81A04A0 0000230D
	v_mfma_f32_16x16x16_bf16 v[56:59], a[156:157], a[44:45], v[56:59]// 00000000707C: D3E10038 1CE2599C
	v_mfma_f32_16x16x16_bf16 v[56:59], a[158:159], a[46:47], v[56:59]// 000000007084: D3E10038 1CE25D9E
	s_cmp_lt_i32 s73, 3                                        // 00000000708C: BF048349
	s_cbranch_scc0 label_0CB4                                  // 000000007090: BF84000F
	s_cmp_eq_i32 s73, 1                                        // 000000007094: BF008149
	s_cbranch_scc1 label_0CAA                                  // 000000007098: BF850003
	s_cmp_eq_i32 s73, 2                                        // 00000000709C: BF008249
	s_cbranch_scc1 label_0CAF                                  // 0000000070A0: BF850006
	s_branch label_0CB4                                        // 0000000070A4: BF82000A

00000000000070a8 <label_0CAA>:
	v_mov_b32_e32 v52, v151                                    // 0000000070A8: 7E680397
	v_mov_b32_e32 v53, v151                                    // 0000000070AC: 7E6A0397
	v_mov_b32_e32 v54, v151                                    // 0000000070B0: 7E6C0397
	v_mov_b32_e32 v55, v151                                    // 0000000070B4: 7E6E0397
	s_branch label_0CAF                                        // 0000000070B8: BF820000

00000000000070bc <label_0CAF>:
	v_mov_b32_e32 v56, v151                                    // 0000000070BC: 7E700397
	v_mov_b32_e32 v57, v151                                    // 0000000070C0: 7E720397
	v_mov_b32_e32 v58, v151                                    // 0000000070C4: 7E740397
	v_mov_b32_e32 v59, v151                                    // 0000000070C8: 7E760397
	s_branch label_0CB4                                        // 0000000070CC: BF820000

00000000000070d0 <label_0CB4>:
	s_waitcnt lgkmcnt(8)                                       // 0000000070D0: BF8CC87F
	s_barrier                                                  // 0000000070D4: BF8A0000
	v_mfma_f32_16x16x16_bf16 v[72:75], v[92:93], a[96:97], 0   // 0000000070D8: D3E10048 1202C15C
	ds_read_b128 a[144:147], v14 offset:4352                   // 0000000070E0: DBFE1100 9000000E
	ds_read_b128 a[148:151], v14 offset:4864                   // 0000000070E8: DBFE1300 9400000E
	v_mfma_f32_16x16x16_bf16 v[72:75], v[94:95], a[98:99], v[72:75]// 0000000070F0: D3E10048 1522C55E
	v_fma_f32 v48, v48, s57, -v124                             // 0000000070F8: D1CB0030 85F07330
	v_fma_f32 v49, v49, s57, -v125                             // 000000007100: D1CB0031 85F47331
	v_fma_f32 v50, v50, s57, -v126                             // 000000007108: D1CB0032 85F87332
	v_mfma_f32_16x16x16_bf16 v[72:75], v[96:97], a[100:101], v[72:75]// 000000007110: D3E10048 1522C960
	v_fma_f32 v51, v51, s57, -v127                             // 000000007118: D1CB0033 85FC7333
	v_fma_f32 v52, v52, s57, -v124                             // 000000007120: D1CB0034 85F07334
	v_fma_f32 v53, v53, s57, -v125                             // 000000007128: D1CB0035 85F47335
	v_mfma_f32_16x16x16_bf16 v[72:75], v[98:99], a[102:103], v[72:75]// 000000007130: D3E10048 1522CD62
	v_fma_f32 v54, v54, s57, -v126                             // 000000007138: D1CB0036 85F87336
	v_fma_f32 v55, v55, s57, -v127                             // 000000007140: D1CB0037 85FC7337
	v_fma_f32 v56, v56, s57, -v124                             // 000000007148: D1CB0038 85F07338
	v_mfma_f32_16x16x16_bf16 v[72:75], v[100:101], a[104:105], v[72:75]// 000000007150: D3E10048 1522D164
	ds_read_b128 a[152:155], v14 offset:6528                   // 000000007158: DBFE1980 9800000E
	ds_read_b128 a[156:159], v14 offset:7040                   // 000000007160: DBFE1B80 9C00000E
	v_mfma_f32_16x16x16_bf16 v[72:75], v[102:103], a[106:107], v[72:75]// 000000007168: D3E10048 1522D566
	v_fma_f32 v57, v57, s57, -v125                             // 000000007170: D1CB0039 85F47339
	v_fma_f32 v58, v58, s57, -v126                             // 000000007178: D1CB003A 85F8733A
	v_fma_f32 v59, v59, s57, -v127                             // 000000007180: D1CB003B 85FC733B
	v_mfma_f32_16x16x16_bf16 v[72:75], v[104:105], a[108:109], v[72:75]// 000000007188: D3E10048 1522D968
	v_exp_f32_e32 v48, v48                                     // 000000007190: 7E604130
	v_mfma_f32_16x16x16_bf16 v[72:75], v[106:107], a[110:111], v[72:75]// 000000007194: D3E10048 1522DD6A
	v_exp_f32_e32 v49, v49                                     // 00000000719C: 7E624131
	v_mfma_f32_16x16x16_bf16 v[76:79], v[92:93], a[112:113], 0 // 0000000071A0: D3E1004C 1202E15C
	ds_read_b32 v136, v21 offset:24320                         // 0000000071A8: D86C5F00 88000015
	ds_read_b32 v137, v21 offset:24336                         // 0000000071B0: D86C5F10 89000015
	v_mfma_f32_16x16x16_bf16 v[76:79], v[94:95], a[114:115], v[76:79]// 0000000071B8: D3E1004C 1532E55E
	v_exp_f32_e32 v50, v50                                     // 0000000071C0: 7E644132
	v_mfma_f32_16x16x16_bf16 v[76:79], v[96:97], a[116:117], v[76:79]// 0000000071C4: D3E1004C 1532E960
	ds_read_b32 v138, v21 offset:26496                         // 0000000071CC: D86C6780 8A000015
	ds_read_b32 v139, v21 offset:26512                         // 0000000071D4: D86C6790 8B000015
	v_mfma_f32_16x16x16_bf16 v[76:79], v[98:99], a[118:119], v[76:79]// 0000000071DC: D3E1004C 1532ED62
	v_exp_f32_e32 v51, v51                                     // 0000000071E4: 7E664133
	v_mfma_f32_16x16x16_bf16 v[76:79], v[100:101], a[120:121], v[76:79]// 0000000071E8: D3E1004C 1532F164
	v_exp_f32_e32 v52, v52                                     // 0000000071F0: 7E684134
	v_mfma_f32_16x16x16_bf16 v[76:79], v[102:103], a[122:123], v[76:79]// 0000000071F4: D3E1004C 1532F566
	v_exp_f32_e32 v53, v53                                     // 0000000071FC: 7E6A4135
	v_mfma_f32_16x16x16_bf16 v[76:79], v[104:105], a[124:125], v[76:79]// 000000007200: D3E1004C 1532F968
	v_exp_f32_e32 v54, v54                                     // 000000007208: 7E6C4136
	v_mfma_f32_16x16x16_bf16 v[76:79], v[106:107], a[126:127], v[76:79]// 00000000720C: D3E1004C 1532FD6A
	v_exp_f32_e32 v55, v55                                     // 000000007214: 7E6E4137
	v_mfma_f32_16x16x16_bf16 v[80:83], v[92:93], a[128:129], 0 // 000000007218: D3E10050 1203015C
	v_exp_f32_e32 v56, v56                                     // 000000007220: 7E704138
	v_mfma_f32_16x16x16_bf16 v[80:83], v[94:95], a[130:131], v[80:83]// 000000007224: D3E10050 1543055E
	v_exp_f32_e32 v57, v57                                     // 00000000722C: 7E724139
	v_mfma_f32_16x16x16_bf16 v[80:83], v[96:97], a[132:133], v[80:83]// 000000007230: D3E10050 15430960
	v_exp_f32_e32 v58, v58                                     // 000000007238: 7E74413A
	v_mfma_f32_16x16x16_bf16 v[80:83], v[98:99], a[134:135], v[80:83]// 00000000723C: D3E10050 15430D62
	v_exp_f32_e32 v59, v59                                     // 000000007244: 7E76413B
	v_mfma_f32_16x16x16_bf16 v[80:83], v[100:101], a[136:137], v[80:83]// 000000007248: D3E10050 15431164
	v_cmp_u_f32_e64 s[74:75], v48, v48                         // 000000007250: D048004A 00026130
	v_add3_u32 v248, v48, v251, 1                              // 000000007258: D1FF00F8 0207F730
	v_cndmask_b32_e64 v28, v248, v250, s[74:75]                // 000000007260: D100001C 012BF5F8
	v_cmp_u_f32_e64 s[74:75], v49, v49                         // 000000007268: D048004A 00026331
	v_add3_u32 v248, v49, v251, 1                              // 000000007270: D1FF00F8 0207F731
	v_cndmask_b32_e64 v29, v248, v250, s[74:75]                // 000000007278: D100001D 012BF5F8
	v_perm_b32 v144, v29, v28, s64                             // 000000007280: D1ED0090 0102391D
	v_cmp_u_f32_e64 s[74:75], v50, v50                         // 000000007288: D048004A 00026532
	v_add3_u32 v248, v50, v251, 1                              // 000000007290: D1FF00F8 0207F732
	v_cndmask_b32_e64 v28, v248, v250, s[74:75]                // 000000007298: D100001C 012BF5F8
	v_cmp_u_f32_e64 s[74:75], v51, v51                         // 0000000072A0: D048004A 00026733
	v_add3_u32 v248, v51, v251, 1                              // 0000000072A8: D1FF00F8 0207F733
	v_cndmask_b32_e64 v29, v248, v250, s[74:75]                // 0000000072B0: D100001D 012BF5F8
	v_perm_b32 v145, v29, v28, s64                             // 0000000072B8: D1ED0091 0102391D
	v_cmp_u_f32_e64 s[74:75], v52, v52                         // 0000000072C0: D048004A 00026934
	v_add3_u32 v248, v52, v251, 1                              // 0000000072C8: D1FF00F8 0207F734
	v_cndmask_b32_e64 v28, v248, v250, s[74:75]                // 0000000072D0: D100001C 012BF5F8
	v_cmp_u_f32_e64 s[74:75], v53, v53                         // 0000000072D8: D048004A 00026B35
	v_add3_u32 v248, v53, v251, 1                              // 0000000072E0: D1FF00F8 0207F735
	v_cndmask_b32_e64 v29, v248, v250, s[74:75]                // 0000000072E8: D100001D 012BF5F8
	v_perm_b32 v146, v29, v28, s64                             // 0000000072F0: D1ED0092 0102391D
	v_mfma_f32_16x16x16_bf16 v[80:83], v[102:103], a[138:139], v[80:83]// 0000000072F8: D3E10050 15431566
	v_cmp_u_f32_e64 s[74:75], v54, v54                         // 000000007300: D048004A 00026D36
	v_add3_u32 v248, v54, v251, 1                              // 000000007308: D1FF00F8 0207F736
	v_cndmask_b32_e64 v28, v248, v250, s[74:75]                // 000000007310: D100001C 012BF5F8
	v_cmp_u_f32_e64 s[74:75], v55, v55                         // 000000007318: D048004A 00026F37
	v_add3_u32 v248, v55, v251, 1                              // 000000007320: D1FF00F8 0207F737
	v_cndmask_b32_e64 v29, v248, v250, s[74:75]                // 000000007328: D100001D 012BF5F8
	v_perm_b32 v147, v29, v28, s64                             // 000000007330: D1ED0093 0102391D
	v_cmp_u_f32_e64 s[74:75], v56, v56                         // 000000007338: D048004A 00027138
	v_add3_u32 v248, v56, v251, 1                              // 000000007340: D1FF00F8 0207F738
	v_cndmask_b32_e64 v28, v248, v250, s[74:75]                // 000000007348: D100001C 012BF5F8
	v_cmp_u_f32_e64 s[74:75], v57, v57                         // 000000007350: D048004A 00027339
	v_add3_u32 v248, v57, v251, 1                              // 000000007358: D1FF00F8 0207F739
	v_cndmask_b32_e64 v29, v248, v250, s[74:75]                // 000000007360: D100001D 012BF5F8
	v_perm_b32 v148, v29, v28, s64                             // 000000007368: D1ED0094 0102391D
	v_cmp_u_f32_e64 s[74:75], v58, v58                         // 000000007370: D048004A 0002753A
	v_add3_u32 v248, v58, v251, 1                              // 000000007378: D1FF00F8 0207F73A
	v_cndmask_b32_e64 v28, v248, v250, s[74:75]                // 000000007380: D100001C 012BF5F8
	v_cmp_u_f32_e64 s[74:75], v59, v59                         // 000000007388: D048004A 0002773B
	v_add3_u32 v248, v59, v251, 1                              // 000000007390: D1FF00F8 0207F73B
	v_cndmask_b32_e64 v29, v248, v250, s[74:75]                // 000000007398: D100001D 012BF5F8
	v_perm_b32 v149, v29, v28, s64                             // 0000000073A0: D1ED0095 0102391D
	v_mfma_f32_16x16x16_bf16 v[80:83], v[104:105], a[140:141], v[80:83]// 0000000073A8: D3E10050 15431968
	s_add_u32 s32, s66, s32                                    // 0000000073B0: 80202042
	s_addc_u32 s33, 0, s33                                     // 0000000073B4: 82212180
	v_mfma_f32_16x16x16_bf16 v[80:83], v[106:107], a[142:143], v[80:83]// 0000000073B8: D3E10050 15431D6A
	s_waitcnt lgkmcnt(0)                                       // 0000000073C0: BF8CC07F
	s_barrier                                                  // 0000000073C4: BF8A0000
	v_mfma_f32_16x16x16_bf16 v[152:155], v[108:109], v[144:145], v[152:155]// 0000000073C8: D3E10098 0663216C
	v_subrev_f32_dpp v72, v150, v72 quad_perm:[0,0,0,0] row_mask:0xf bank_mask:0xf// 0000000073D0: 069090FA FF000096
	v_subrev_f32_dpp v73, v150, v73 quad_perm:[1,1,1,1] row_mask:0xf bank_mask:0xf// 0000000073D8: 069292FA FF005596
	v_subrev_f32_dpp v74, v150, v74 quad_perm:[2,2,2,2] row_mask:0xf bank_mask:0xf// 0000000073E0: 069494FA FF00AA96
	v_mfma_f32_16x16x16_bf16 v[156:159], v[110:111], v[144:145], v[156:159]// 0000000073E8: D3E1009C 0673216E
	v_subrev_f32_dpp v75, v150, v75 quad_perm:[3,3,3,3] row_mask:0xf bank_mask:0xf// 0000000073F0: 069696FA FF00FF96
	v_subrev_f32_dpp v76, v150, v76 quad_perm:[0,0,0,0] row_mask:0xf bank_mask:0xf// 0000000073F8: 069898FA FF000096
	v_subrev_f32_dpp v77, v150, v77 quad_perm:[1,1,1,1] row_mask:0xf bank_mask:0xf// 000000007400: 069A9AFA FF005596
	v_mfma_f32_16x16x16_bf16 v[160:163], v[112:113], v[144:145], v[160:163]// 000000007408: D3E100A0 06832170
	v_mul_f32_e32 v72, v48, v72                                // 000000007410: 0A909130
	v_mul_f32_e32 v73, v49, v73                                // 000000007414: 0A929331
	v_mul_f32_e32 v74, v50, v74                                // 000000007418: 0A949532
	v_mfma_f32_16x16x16_bf16 v[164:167], v[114:115], v[144:145], v[164:167]// 00000000741C: D3E100A4 06932172
	v_mul_f32_e32 v75, v51, v75                                // 000000007424: 0A969733
	v_mul_f32_e32 v76, v52, v76                                // 000000007428: 0A989934
	v_mul_f32_e32 v77, v53, v77                                // 00000000742C: 0A9A9B35
	v_mfma_f32_16x16x16_bf16 v[168:171], v[116:117], v[144:145], v[168:171]// 000000007430: D3E100A8 06A32174
	v_cmp_u_f32_e64 s[74:75], v72, v72                         // 000000007438: D048004A 00029148
	v_add3_u32 v248, v72, v251, 1                              // 000000007440: D1FF00F8 0207F748
	v_cndmask_b32_e64 v28, v248, v250, s[74:75]                // 000000007448: D100001C 012BF5F8
	v_cmp_u_f32_e64 s[74:75], v73, v73                         // 000000007450: D048004A 00029349
	v_add3_u32 v248, v73, v251, 1                              // 000000007458: D1FF00F8 0207F749
	v_cndmask_b32_e64 v29, v248, v250, s[74:75]                // 000000007460: D100001D 012BF5F8
	v_perm_b32 v72, v29, v28, s64                              // 000000007468: D1ED0048 0102391D
	v_cmp_u_f32_e64 s[74:75], v74, v74                         // 000000007470: D048004A 0002954A
	v_add3_u32 v248, v74, v251, 1                              // 000000007478: D1FF00F8 0207F74A
	v_cndmask_b32_e64 v28, v248, v250, s[74:75]                // 000000007480: D100001C 012BF5F8
	v_cmp_u_f32_e64 s[74:75], v75, v75                         // 000000007488: D048004A 0002974B
	v_add3_u32 v248, v75, v251, 1                              // 000000007490: D1FF00F8 0207F74B
	v_cndmask_b32_e64 v29, v248, v250, s[74:75]                // 000000007498: D100001D 012BF5F8
	v_perm_b32 v73, v29, v28, s64                              // 0000000074A0: D1ED0049 0102391D
	v_cmp_u_f32_e64 s[74:75], v76, v76                         // 0000000074A8: D048004A 0002994C
	v_add3_u32 v248, v76, v251, 1                              // 0000000074B0: D1FF00F8 0207F74C
	v_cndmask_b32_e64 v28, v248, v250, s[74:75]                // 0000000074B8: D100001C 012BF5F8
	v_cmp_u_f32_e64 s[74:75], v77, v77                         // 0000000074C0: D048004A 00029B4D
	v_add3_u32 v248, v77, v251, 1                              // 0000000074C8: D1FF00F8 0207F74D
	v_cndmask_b32_e64 v29, v248, v250, s[74:75]                // 0000000074D0: D100001D 012BF5F8
	v_perm_b32 v74, v29, v28, s64                              // 0000000074D8: D1ED004A 0102391D
	v_mfma_f32_16x16x16_bf16 v[172:175], v[118:119], v[144:145], v[172:175]// 0000000074E0: D3E100AC 06B32176
	v_mov_b32_dpp v18, v72 quad_perm:[1,0,3,2] row_mask:0xf bank_mask:0xf// 0000000074E8: 7E2402FA FF00B148
	v_perm_b32 v48, v18, v72, v17                              // 0000000074F0: D1ED0030 04469112
	v_mov_b32_dpp v18, v73 quad_perm:[1,0,3,2] row_mask:0xf bank_mask:0xf// 0000000074F8: 7E2402FA FF00B149
	v_mfma_f32_16x16x16_bf16 v[176:179], v[120:121], v[144:145], v[176:179]// 000000007500: D3E100B0 06C32178
	v_perm_b32 v49, v18, v73, v17                              // 000000007508: D1ED0031 04469312
	v_mov_b32_dpp v18, v74 quad_perm:[1,0,3,2] row_mask:0xf bank_mask:0xf// 000000007510: 7E2402FA FF00B14A
	v_perm_b32 v50, v18, v74, v17                              // 000000007518: D1ED0032 04469512
	v_mfma_f32_16x16x16_bf16 v[180:183], v[122:123], v[144:145], v[180:183]// 000000007520: D3E100B4 06D3217A
	ds_write_b32 v20, v48 offset:17408                         // 000000007528: D81A4400 00003014
	v_mfma_f32_16x16x16_bf16 v[184:187], v[108:109], v[146:147], v[184:187]// 000000007530: D3E100B8 06E3256C
	v_subrev_f32_dpp v78, v150, v78 quad_perm:[2,2,2,2] row_mask:0xf bank_mask:0xf// 000000007538: 069C9CFA FF00AA96
	v_subrev_f32_dpp v79, v150, v79 quad_perm:[3,3,3,3] row_mask:0xf bank_mask:0xf// 000000007540: 069E9EFA FF00FF96
	v_subrev_f32_dpp v80, v150, v80 quad_perm:[0,0,0,0] row_mask:0xf bank_mask:0xf// 000000007548: 06A0A0FA FF000096
	v_mfma_f32_16x16x16_bf16 v[188:191], v[110:111], v[146:147], v[188:191]// 000000007550: D3E100BC 06F3256E
	ds_write_b32 v20, v49 offset:17952                         // 000000007558: D81A4620 00003114
	v_mfma_f32_16x16x16_bf16 v[192:195], v[112:113], v[146:147], v[192:195]// 000000007560: D3E100C0 07032570
	v_subrev_f32_dpp v81, v150, v81 quad_perm:[1,1,1,1] row_mask:0xf bank_mask:0xf// 000000007568: 06A2A2FA FF005596
	v_subrev_f32_dpp v82, v150, v82 quad_perm:[2,2,2,2] row_mask:0xf bank_mask:0xf// 000000007570: 06A4A4FA FF00AA96
	v_subrev_f32_dpp v83, v150, v83 quad_perm:[3,3,3,3] row_mask:0xf bank_mask:0xf// 000000007578: 06A6A6FA FF00FF96
	v_mfma_f32_16x16x16_bf16 v[196:199], v[114:115], v[146:147], v[196:199]// 000000007580: D3E100C4 07132572
	ds_write_b32 v20, v50 offset:19712                         // 000000007588: D81A4D00 00003214
	v_mfma_f32_16x16x16_bf16 v[200:203], v[116:117], v[146:147], v[200:203]// 000000007590: D3E100C8 07232574
	v_mul_f32_e32 v78, v54, v78                                // 000000007598: 0A9C9D36
	v_mul_f32_e32 v79, v55, v79                                // 00000000759C: 0A9E9F37
	v_mul_f32_e32 v80, v56, v80                                // 0000000075A0: 0AA0A138
	v_mfma_f32_16x16x16_bf16 v[204:207], v[118:119], v[146:147], v[204:207]// 0000000075A4: D3E100CC 07332576
	v_mul_f32_e32 v81, v57, v81                                // 0000000075AC: 0AA2A339
	v_mul_f32_e32 v82, v58, v82                                // 0000000075B0: 0AA4A53A
	v_mul_f32_e32 v83, v59, v83                                // 0000000075B4: 0AA6A73B
	v_mfma_f32_16x16x16_bf16 v[208:211], v[120:121], v[146:147], v[208:211]// 0000000075B8: D3E100D0 07432578
	v_cmp_u_f32_e64 s[74:75], v78, v78                         // 0000000075C0: D048004A 00029D4E
	v_add3_u32 v248, v78, v251, 1                              // 0000000075C8: D1FF00F8 0207F74E
	v_cndmask_b32_e64 v28, v248, v250, s[74:75]                // 0000000075D0: D100001C 012BF5F8
	v_cmp_u_f32_e64 s[74:75], v79, v79                         // 0000000075D8: D048004A 00029F4F
	v_add3_u32 v248, v79, v251, 1                              // 0000000075E0: D1FF00F8 0207F74F
	v_cndmask_b32_e64 v29, v248, v250, s[74:75]                // 0000000075E8: D100001D 012BF5F8
	v_perm_b32 v75, v29, v28, s64                              // 0000000075F0: D1ED004B 0102391D
	v_cmp_u_f32_e64 s[74:75], v80, v80                         // 0000000075F8: D048004A 0002A150
	v_add3_u32 v248, v80, v251, 1                              // 000000007600: D1FF00F8 0207F750
	v_cndmask_b32_e64 v28, v248, v250, s[74:75]                // 000000007608: D100001C 012BF5F8
	v_cmp_u_f32_e64 s[74:75], v81, v81                         // 000000007610: D048004A 0002A351
	v_add3_u32 v248, v81, v251, 1                              // 000000007618: D1FF00F8 0207F751
	v_cndmask_b32_e64 v29, v248, v250, s[74:75]                // 000000007620: D100001D 012BF5F8
	v_perm_b32 v76, v29, v28, s64                              // 000000007628: D1ED004C 0102391D
	v_cmp_u_f32_e64 s[74:75], v82, v82                         // 000000007630: D048004A 0002A552
	v_add3_u32 v248, v82, v251, 1                              // 000000007638: D1FF00F8 0207F752
	v_cndmask_b32_e64 v28, v248, v250, s[74:75]                // 000000007640: D100001C 012BF5F8
	v_cmp_u_f32_e64 s[74:75], v83, v83                         // 000000007648: D048004A 0002A753
	v_add3_u32 v248, v83, v251, 1                              // 000000007650: D1FF00F8 0207F753
	v_cndmask_b32_e64 v29, v248, v250, s[74:75]                // 000000007658: D100001D 012BF5F8
	v_perm_b32 v77, v29, v28, s64                              // 000000007660: D1ED004D 0102391D
	v_mfma_f32_16x16x16_bf16 v[212:215], v[122:123], v[146:147], v[212:215]// 000000007668: D3E100D4 0753257A
	v_mov_b32_dpp v18, v75 quad_perm:[1,0,3,2] row_mask:0xf bank_mask:0xf// 000000007670: 7E2402FA FF00B14B
	v_perm_b32 v51, v18, v75, v17                              // 000000007678: D1ED0033 04469712
	v_mov_b32_dpp v18, v76 quad_perm:[1,0,3,2] row_mask:0xf bank_mask:0xf// 000000007680: 7E2402FA FF00B14C
	v_mfma_f32_16x16x16_bf16 v[216:219], v[108:109], v[148:149], v[216:219]// 000000007688: D3E100D8 0763296C
	v_perm_b32 v52, v18, v76, v17                              // 000000007690: D1ED0034 04469912
	v_mov_b32_dpp v18, v77 quad_perm:[1,0,3,2] row_mask:0xf bank_mask:0xf// 000000007698: 7E2402FA FF00B14D
	v_perm_b32 v53, v18, v77, v17                              // 0000000076A0: D1ED0035 04469B12
	v_mfma_f32_16x16x16_bf16 v[220:223], v[110:111], v[148:149], v[220:223]// 0000000076A8: D3E100DC 0773296E
	ds_write_b32 v20, v51 offset:20256                         // 0000000076B0: D81A4F20 00003314
	v_mfma_f32_16x16x16_bf16 v[224:227], v[112:113], v[148:149], v[224:227]// 0000000076B8: D3E100E0 07832970
	v_mfma_f32_16x16x16_bf16 v[228:231], v[114:115], v[148:149], v[228:231]// 0000000076C0: D3E100E4 07932972
	ds_write_b32 v20, v52 offset:22016                         // 0000000076C8: D81A5600 00003414
	ds_write_b32 v20, v53 offset:22560                         // 0000000076D0: D81A5820 00003514
	v_mfma_f32_16x16x16_bf16 v[232:235], v[116:117], v[148:149], v[232:235]// 0000000076D8: D3E100E8 07A32974
	v_mfma_f32_16x16x16_bf16 v[236:239], v[118:119], v[148:149], v[236:239]// 0000000076E0: D3E100EC 07B32976
	ds_write_b32 v15, v84 offset:4352                          // 0000000076E8: D81A1100 0000540F
	ds_write_b32 v15, v85 offset:5408                          // 0000000076F0: D81A1520 0000550F
	v_mfma_f32_16x16x16_bf16 v[240:243], v[120:121], v[148:149], v[240:243]// 0000000076F8: D3E100F0 07C32978
	s_nop 0                                                    // 000000007700: BF800000
	s_nop 0                                                    // 000000007704: BF800000
	;; [unrolled: 1-line block ×3, first 2 shown]
	v_mfma_f32_16x16x16_bf16 v[244:247], v[122:123], v[148:149], v[244:247]// 00000000770C: D3E100F4 07D3297A
	ds_write_b32 v15, v86 offset:4480                          // 000000007714: D81A1180 0000560F
	ds_write_b32 v15, v87 offset:5536                          // 00000000771C: D81A15A0 0000570F
	s_barrier                                                  // 000000007724: BF8A0000
	v_mfma_f32_16x16x16_bf16 a[160:163], a[144:145], v[72:73], a[160:163]// 000000007728: D3E180A0 0E829190
	global_atomic_pk_add_bf16 v6, v136, s[32:33]               // 000000007730: DD488000 00208806
	v_mfma_f32_16x16x16_bf16 a[164:167], a[146:147], v[72:73], a[164:167]// 000000007738: D3E180A4 0E929192
	ds_read_b32 v124, v23 offset:50688                         // 000000007740: D86CC600 7C000017
	ds_read_b32 v150, v23 offset:50944                         // 000000007748: D86CC700 96000017
	v_mfma_f32_16x16x16_bf16 a[168:171], a[148:149], v[72:73], a[168:171]// 000000007750: D3E180A8 0EA29194
	s_waitcnt lgkmcnt(6)                                       // 000000007758: BF8CC67F
	s_barrier                                                  // 00000000775C: BF8A0000
	v_mfma_f32_16x16x16_bf16 a[172:175], a[150:151], v[72:73], a[172:175]// 000000007760: D3E180AC 0EB29196
	ds_read_b128 v[48:51], v19 offset:17408                    // 000000007768: D9FE4400 30000013
	v_mfma_f32_16x16x16_bf16 a[176:179], a[152:153], v[72:73], a[176:179]// 000000007770: D3E180B0 0EC29198
	v_mfma_f32_16x16x16_bf16 a[180:183], a[154:155], v[72:73], a[180:183]// 000000007778: D3E180B4 0ED2919A
	ds_read_b128 v[52:55], v19 offset:18560                    // 000000007780: D9FE4880 34000013
	v_mfma_f32_16x16x16_bf16 a[184:187], a[156:157], v[72:73], a[184:187]// 000000007788: D3E180B8 0EE2919C
	global_atomic_pk_add_bf16 v8, v137, s[32:33]               // 000000007790: DD488000 00208908
	v_mfma_f32_16x16x16_bf16 a[188:191], a[158:159], v[72:73], a[188:191]// 000000007798: D3E180BC 0EF2919E
	ds_read_b128 v[56:59], v19 offset:19712                    // 0000000077A0: D9FE4D00 38000013
	v_mfma_f32_16x16x16_bf16 a[192:195], a[144:145], v[74:75], a[192:195]// 0000000077A8: D3E180C0 0F029590
	v_mfma_f32_16x16x16_bf16 a[196:199], a[146:147], v[74:75], a[196:199]// 0000000077B0: D3E180C4 0F129592
	ds_read_b128 v[60:63], v19 offset:20864                    // 0000000077B8: D9FE5180 3C000013
	v_mfma_f32_16x16x16_bf16 a[200:203], a[148:149], v[74:75], a[200:203]// 0000000077C0: D3E180C8 0F229594
	v_mfma_f32_16x16x16_bf16 a[204:207], a[150:151], v[74:75], a[204:207]// 0000000077C8: D3E180CC 0F329596
	ds_read_b128 v[64:67], v19 offset:22016                    // 0000000077D0: D9FE5600 40000013
	v_mfma_f32_16x16x16_bf16 a[208:211], a[152:153], v[74:75], a[208:211]// 0000000077D8: D3E180D0 0F429598
	s_mov_b64 exec, s[92:93]                                   // 0000000077E0: BEFE015C
	global_atomic_pk_add_bf16 v6, v138, s[32:33] offset:128    // 0000000077E4: DD488080 00208A06
	s_mov_b64 exec, s[86:87]                                   // 0000000077EC: BEFE0156
	v_mfma_f32_16x16x16_bf16 a[212:215], a[154:155], v[74:75], a[212:215]// 0000000077F0: D3E180D4 0F52959A
	ds_read_b128 v[68:71], v19 offset:23168                    // 0000000077F8: D9FE5A80 44000013
	v_mfma_f32_16x16x16_bf16 a[216:219], a[156:157], v[74:75], a[216:219]// 000000007800: D3E180D8 0F62959C
	v_mfma_f32_16x16x16_bf16 a[220:223], a[158:159], v[74:75], a[220:223]// 000000007808: D3E180DC 0F72959E
	ds_write_b32 v15, v88 offset:13056                         // 000000007810: D81A3300 0000580F
	v_mfma_f32_16x16x16_bf16 a[224:227], a[144:145], v[76:77], a[224:227]// 000000007818: D3E180E0 0F829990
	v_mfma_f32_16x16x16_bf16 a[228:231], a[146:147], v[76:77], a[228:231]// 000000007820: D3E180E4 0F929992
	ds_write_b32 v15, v89 offset:14112                         // 000000007828: D81A3720 0000590F
	v_mfma_f32_16x16x16_bf16 a[232:235], a[148:149], v[76:77], a[232:235]// 000000007830: D3E180E8 0FA29994
	s_mov_b64 exec, s[92:93]                                   // 000000007838: BEFE015C
	global_atomic_pk_add_bf16 v8, v139, s[32:33] offset:128    // 00000000783C: DD488080 00208B08
	s_mov_b64 exec, s[86:87]                                   // 000000007844: BEFE0156
	v_mfma_f32_16x16x16_bf16 a[236:239], a[150:151], v[76:77], a[236:239]// 000000007848: D3E180EC 0FB29996
	ds_write_b32 v15, v90 offset:13184                         // 000000007850: D81A3380 00005A0F
	v_mfma_f32_16x16x16_bf16 a[240:243], a[152:153], v[76:77], a[240:243]// 000000007858: D3E180F0 0FC29998
	v_mfma_f32_16x16x16_bf16 a[244:247], a[154:155], v[76:77], a[244:247]// 000000007860: D3E180F4 0FD2999A
	ds_write_b32 v15, v91 offset:14240                         // 000000007868: D81A37A0 00005B0F
	v_mfma_f32_16x16x16_bf16 a[248:251], a[156:157], v[76:77], a[248:251]// 000000007870: D3E180F8 0FE2999C
	v_mfma_f32_16x16x16_bf16 a[252:255], a[158:159], v[76:77], a[252:255]// 000000007878: D3E180FC 0FF2999E
	s_waitcnt vmcnt(4) lgkmcnt(4)                              // 000000007880: BF8C0474
	s_barrier                                                  // 000000007884: BF8A0000
	v_mfma_f32_16x16x16_bf16 v[128:131], a[48:49], v[48:49], 0 // 000000007888: D3E10080 0A026130
	v_mul_f32_e32 v124, s49, v124                              // 000000007890: 0AF8F831
	s_nop 0                                                    // 000000007894: BF800000
	v_mfma_f32_16x16x16_bf16 v[128:131], a[52:53], v[50:51], v[128:131]// 000000007898: D3E10080 0E026534
	ds_read_b128 a[144:147], v12                               // 0000000078A0: DBFE0000 9000000C
	v_mov_b32_e32 v32, 0                                       // 0000000078A8: 7E400280
	s_mov_b64 exec, s[88:89]                                   // 0000000078AC: BEFE0158
	buffer_load_dword v32, v1, s[8:11], 0 idxen                // 0000000078B0: E0502000 80022001
	s_mov_b64 exec, s[86:87]                                   // 0000000078B8: BEFE0156
	v_mfma_f32_16x16x16_bf16 v[128:131], a[56:57], v[52:53], v[128:131]// 0000000078BC: D3E10080 0E026938
	v_mfma_f32_16x16x16_bf16 v[128:131], a[60:61], v[54:55], v[128:131]// 0000000078C4: D3E10080 0E026D3C
	ds_read_b128 a[148:151], v12 offset:512                    // 0000000078CC: DBFE0200 9400000C
	v_mov_b32_e32 v33, 0                                       // 0000000078D4: 7E420280
	s_mov_b64 exec, s[88:89]                                   // 0000000078D8: BEFE0158
	buffer_load_dword v33, v2, s[8:11], 0 idxen                // 0000000078DC: E0502000 80022102
	s_mov_b64 exec, s[86:87]                                   // 0000000078E4: BEFE0156
	v_mfma_f32_16x16x16_bf16 v[128:131], a[64:65], v[56:57], v[128:131]// 0000000078E8: D3E10080 0E027140
	v_perm_b32 v84, v37, v36, s63                              // 0000000078F0: D1ED0054 00FE4925
	v_perm_b32 v85, v37, v36, s64                              // 0000000078F8: D1ED0055 01024925
	v_mfma_f32_16x16x16_bf16 v[128:131], a[68:69], v[58:59], v[128:131]// 000000007900: D3E10080 0E027544
	ds_read_b128 a[152:155], v12 offset:2176                   // 000000007908: DBFE0880 9800000C
	v_mov_b32_e32 v34, 0                                       // 000000007910: 7E440280
	s_mov_b64 exec, s[88:89]                                   // 000000007914: BEFE0158
	buffer_load_dword v34, v3, s[8:11], 0 idxen                // 000000007918: E0502000 80022203
	s_mov_b64 exec, s[86:87]                                   // 000000007920: BEFE0156
	v_mfma_f32_16x16x16_bf16 v[128:131], a[72:73], v[60:61], v[128:131]// 000000007924: D3E10080 0E027948
	v_perm_b32 v86, v39, v38, s63                              // 00000000792C: D1ED0056 00FE4D27
	v_perm_b32 v87, v39, v38, s64                              // 000000007934: D1ED0057 01024D27
	v_mfma_f32_16x16x16_bf16 v[128:131], a[76:77], v[62:63], v[128:131]// 00000000793C: D3E10080 0E027D4C
	ds_read_b128 a[156:159], v12 offset:2688                   // 000000007944: DBFE0A80 9C00000C
	v_mov_b32_e32 v35, 0                                       // 00000000794C: 7E460280
	s_mov_b64 exec, s[88:89]                                   // 000000007950: BEFE0158
	buffer_load_dword v35, v4, s[8:11], 0 idxen                // 000000007954: E0502000 80022304
	s_mov_b64 exec, s[86:87]                                   // 00000000795C: BEFE0156
	v_mfma_f32_16x16x16_bf16 v[128:131], a[80:81], v[64:65], v[128:131]// 000000007960: D3E10080 0E028150
	v_perm_b32 v88, v45, v44, s63                              // 000000007968: D1ED0058 00FE592D
	v_perm_b32 v89, v45, v44, s64                              // 000000007970: D1ED0059 0102592D
	v_mfma_f32_16x16x16_bf16 v[128:131], a[84:85], v[66:67], v[128:131]// 000000007978: D3E10080 0E028554
	ds_read_b128 v[92:95], v12 offset:8704                     // 000000007980: D9FE2200 5C00000C
	v_mov_b32_e32 v40, 0                                       // 000000007988: 7E500280
	s_mov_b64 exec, s[88:89]                                   // 00000000798C: BEFE0158
	buffer_load_dword v40, v1, s[20:23], 0 idxen               // 000000007990: E0502000 80052801
	s_mov_b64 exec, s[86:87]                                   // 000000007998: BEFE0156
	v_mfma_f32_16x16x16_bf16 v[128:131], a[88:89], v[68:69], v[128:131]// 00000000799C: D3E10080 0E028958
	v_perm_b32 v90, v47, v46, s63                              // 0000000079A4: D1ED005A 00FE5D2F
	v_perm_b32 v91, v47, v46, s64                              // 0000000079AC: D1ED005B 01025D2F
	v_mfma_f32_16x16x16_bf16 v[128:131], a[92:93], v[70:71], v[128:131]// 0000000079B4: D3E10080 0E028D5C
	ds_read_b128 v[96:99], v12 offset:9216                     // 0000000079BC: D9FE2400 6000000C
	v_mov_b32_e32 v41, 0                                       // 0000000079C4: 7E520280
	s_mov_b64 exec, s[88:89]                                   // 0000000079C8: BEFE0158
	buffer_load_dword v41, v2, s[20:23], 0 idxen               // 0000000079CC: E0502000 80052902
	s_mov_b64 exec, s[86:87]                                   // 0000000079D4: BEFE0156
	v_mfma_f32_16x16x16_bf16 v[132:135], a[50:51], v[48:49], 0 // 0000000079D8: D3E10084 0A026132
	v_mov_b32_dpp v127, v124 quad_perm:[3,3,3,3] row_mask:0xf bank_mask:0xf// 0000000079E0: 7EFE02FA FF00FF7C
	v_mov_b32_dpp v126, v124 quad_perm:[2,2,2,2] row_mask:0xf bank_mask:0xf// 0000000079E8: 7EFC02FA FF00AA7C
	v_mfma_f32_16x16x16_bf16 v[132:135], a[54:55], v[50:51], v[132:135]// 0000000079F0: D3E10084 0E126536
	ds_read_b128 v[100:103], v12 offset:10880                  // 0000000079F8: D9FE2A80 6400000C
	v_mov_b32_e32 v42, 0                                       // 000000007A00: 7E540280
	s_mov_b64 exec, s[88:89]                                   // 000000007A04: BEFE0158
	buffer_load_dword v42, v3, s[20:23], 0 idxen               // 000000007A08: E0502000 80052A03
	s_mov_b64 exec, s[86:87]                                   // 000000007A10: BEFE0156
	v_mfma_f32_16x16x16_bf16 v[132:135], a[58:59], v[52:53], v[132:135]// 000000007A14: D3E10084 0E12693A
	v_mov_b32_dpp v125, v124 quad_perm:[1,1,1,1] row_mask:0xf bank_mask:0xf// 000000007A1C: 7EFA02FA FF00557C
	v_mov_b32_dpp v124, v124 quad_perm:[0,0,0,0] row_mask:0xf bank_mask:0xf// 000000007A24: 7EF802FA FF00007C
	s_add_u32 s60, 64, s59                                     // 000000007A2C: 803C3BC0
	v_mfma_f32_16x16x16_bf16 v[132:135], a[62:63], v[54:55], v[132:135]// 000000007A30: D3E10084 0E126D3E
	ds_read_b128 v[104:107], v12 offset:11392                  // 000000007A38: D9FE2C80 6800000C
	v_mov_b32_e32 v43, 0                                       // 000000007A40: 7E560280
	s_mov_b64 exec, s[88:89]                                   // 000000007A44: BEFE0158
	buffer_load_dword v43, v4, s[20:23], 0 idxen               // 000000007A48: E0502000 80052B04
	s_mov_b64 exec, s[86:87]                                   // 000000007A50: BEFE0156
	v_mfma_f32_16x16x16_bf16 v[132:135], a[66:67], v[56:57], v[132:135]// 000000007A54: D3E10084 0E127142
	s_cmp_lt_u32 s60, s58                                      // 000000007A5C: BF0A3A3C
	s_cselect_b32 s68, s68, 0                                  // 000000007A60: 85448044
	s_cselect_b32 s69, s69, 0                                  // 000000007A64: 85458045
	v_mfma_f32_16x16x16_bf16 v[132:135], a[70:71], v[58:59], v[132:135]// 000000007A68: D3E10084 0E127546
	buffer_load_dword v11, s[24:27], 0 idxen lds               // 000000007A70: E0512000 8006000B
	v_mfma_f32_16x16x16_bf16 v[132:135], a[74:75], v[60:61], v[132:135]// 000000007A78: D3E10084 0E12794A
	s_add_u32 s8, s68, s8                                      // 000000007A80: 80080844
	s_addc_u32 s9, 0, s9                                       // 000000007A84: 82090980
	v_mfma_f32_16x16x16_bf16 v[132:135], a[78:79], v[62:63], v[132:135]// 000000007A88: D3E10084 0E127D4E
	s_add_u32 s20, s68, s20                                    // 000000007A90: 80141444
	s_addc_u32 s21, 0, s21                                     // 000000007A94: 82151580
	v_mfma_f32_16x16x16_bf16 v[132:135], a[82:83], v[64:65], v[132:135]// 000000007A98: D3E10084 0E128152
	s_mov_b32 m0, s77                                          // 000000007AA0: BEFC004D
	v_add_u32_e32 v11, s69, v11                                // 000000007AA4: 68161645
	v_mfma_f32_16x16x16_bf16 v[132:135], a[86:87], v[66:67], v[132:135]// 000000007AA8: D3E10084 0E128556
	s_cmp_ge_u32 s59, 16                                       // 000000007AB0: BF09903B
	s_cselect_b32 s66, s67, s66                                // 000000007AB4: 85424243
	v_mfma_f32_16x16x16_bf16 v[132:135], a[90:91], v[68:69], v[132:135]// 000000007AB8: D3E10084 0E12895A
	s_addk_i32 s59, 0x10                                       // 000000007AC0: B73B0010
	s_nop 0                                                    // 000000007AC4: BF800000
	s_cmp_lt_i32 s59, s58                                      // 000000007AC8: BF043A3B
	v_mfma_f32_16x16x16_bf16 v[132:135], a[94:95], v[70:71], v[132:135]// 000000007ACC: D3E10084 0E128D5E
	s_cbranch_scc0 label_0F37                                  // 000000007AD4: BF840001
	s_branch label_08F4                                        // 000000007AD8: BF82F9BD

0000000000007adc <label_0F37>:
	s_nop 0                                                    // 000000007ADC: BF800000
	s_nop 0                                                    // 000000007AE0: BF800000
	s_branch label_157D                                        // 000000007AE4: BF820643

0000000000007ae8 <label_0F3A>:
	s_waitcnt lgkmcnt(4)                                       // 000000007AE8: BF8CC47F
	s_barrier                                                  // 000000007AEC: BF8A0000
	v_mfma_f32_16x16x16_bf16 v[48:51], a[144:145], a[0:1], 0   // 000000007AF0: D3E10030 1A020190
	v_mul_f32_e32 v128, s48, v128                              // 000000007AF8: 0B010030
	v_mul_f32_e32 v129, s48, v129                              // 000000007AFC: 0B030230
	v_mfma_f32_16x16x16_bf16 v[48:51], a[146:147], a[2:3], v[48:51]// 000000007B00: D3E10030 1CC20592
	ds_write_b32 v13, v44 offset:8704                          // 000000007B08: D81A2200 00002C0D
	ds_write_b32 v13, v45 offset:9760                          // 000000007B10: D81A2620 00002D0D
	v_mfma_f32_16x16x16_bf16 v[48:51], a[148:149], a[4:5], v[48:51]// 000000007B18: D3E10030 1CC20994
	v_mul_f32_e32 v130, s48, v130                              // 000000007B20: 0B050430
	v_mul_f32_e32 v131, s48, v131                              // 000000007B24: 0B070630
	v_mfma_f32_16x16x16_bf16 v[48:51], a[150:151], a[6:7], v[48:51]// 000000007B28: D3E10030 1CC20D96
	ds_write_b32 v13, v46 offset:8832                          // 000000007B30: D81A2280 00002E0D
	ds_write_b32 v13, v47 offset:9888                          // 000000007B38: D81A26A0 00002F0D
	v_mfma_f32_16x16x16_bf16 v[48:51], a[152:153], a[8:9], v[48:51]// 000000007B40: D3E10030 1CC21198
	v_mul_f32_e32 v132, s48, v132                              // 000000007B48: 0B090830
	v_mul_f32_e32 v133, s48, v133                              // 000000007B4C: 0B0B0A30
	v_mfma_f32_16x16x16_bf16 v[48:51], a[154:155], a[10:11], v[48:51]// 000000007B50: D3E10030 1CC2159A
	v_mul_f32_e32 v134, s48, v134                              // 000000007B58: 0B0D0C30
	v_mul_f32_e32 v135, s48, v135                              // 000000007B5C: 0B0F0E30
	v_mfma_f32_16x16x16_bf16 v[48:51], a[156:157], a[12:13], v[48:51]// 000000007B60: D3E10030 1CC2199C
	v_cmp_u_f32_e64 s[74:75], v128, v128                       // 000000007B68: D048004A 00030180
	v_add3_u32 v248, v128, v251, 1                             // 000000007B70: D1FF00F8 0207F780
	v_cndmask_b32_e64 v28, v248, v250, s[74:75]                // 000000007B78: D100001C 012BF5F8
	v_cmp_u_f32_e64 s[74:75], v129, v129                       // 000000007B80: D048004A 00030381
	v_add3_u32 v248, v129, v251, 1                             // 000000007B88: D1FF00F8 0207F781
	v_cndmask_b32_e64 v29, v248, v250, s[74:75]                // 000000007B90: D100001D 012BF5F8
	v_perm_b32 v128, v29, v28, s64                             // 000000007B98: D1ED0080 0102391D
	v_cmp_u_f32_e64 s[74:75], v130, v130                       // 000000007BA0: D048004A 00030582
	v_add3_u32 v248, v130, v251, 1                             // 000000007BA8: D1FF00F8 0207F782
	v_cndmask_b32_e64 v28, v248, v250, s[74:75]                // 000000007BB0: D100001C 012BF5F8
	v_cmp_u_f32_e64 s[74:75], v131, v131                       // 000000007BB8: D048004A 00030783
	v_add3_u32 v248, v131, v251, 1                             // 000000007BC0: D1FF00F8 0207F783
	v_cndmask_b32_e64 v29, v248, v250, s[74:75]                // 000000007BC8: D100001D 012BF5F8
	v_perm_b32 v129, v29, v28, s64                             // 000000007BD0: D1ED0081 0102391D
	v_mfma_f32_16x16x16_bf16 v[48:51], a[158:159], a[14:15], v[48:51]// 000000007BD8: D3E10030 1CC21D9E
	v_cmp_u_f32_e64 s[74:75], v132, v132                       // 000000007BE0: D048004A 00030984
	v_add3_u32 v248, v132, v251, 1                             // 000000007BE8: D1FF00F8 0207F784
	v_cndmask_b32_e64 v28, v248, v250, s[74:75]                // 000000007BF0: D100001C 012BF5F8
	v_cmp_u_f32_e64 s[74:75], v133, v133                       // 000000007BF8: D048004A 00030B85
	v_add3_u32 v248, v133, v251, 1                             // 000000007C00: D1FF00F8 0207F785
	v_cndmask_b32_e64 v29, v248, v250, s[74:75]                // 000000007C08: D100001D 012BF5F8
	v_perm_b32 v130, v29, v28, s64                             // 000000007C10: D1ED0082 0102391D
	v_cmp_u_f32_e64 s[74:75], v134, v134                       // 000000007C18: D048004A 00030D86
	v_add3_u32 v248, v134, v251, 1                             // 000000007C20: D1FF00F8 0207F786
	v_cndmask_b32_e64 v28, v248, v250, s[74:75]                // 000000007C28: D100001C 012BF5F8
	v_cmp_u_f32_e64 s[74:75], v135, v135                       // 000000007C30: D048004A 00030F87
	v_add3_u32 v248, v135, v251, 1                             // 000000007C38: D1FF00F8 0207F787
	v_cndmask_b32_e64 v29, v248, v250, s[74:75]                // 000000007C40: D100001D 012BF5F8
	v_perm_b32 v131, v29, v28, s64                             // 000000007C48: D1ED0083 0102391D
	v_mfma_f32_16x16x16_bf16 v[52:55], a[144:145], a[16:17], 0 // 000000007C50: D3E10034 1A022190
	v_mfma_f32_16x16x16_bf16 v[52:55], a[146:147], a[18:19], v[52:55]// 000000007C58: D3E10034 1CD22592
	ds_write_b64 v22, v[128:129] offset:24320                  // 000000007C60: D89A5F00 00008016
	v_mfma_f32_16x16x16_bf16 v[52:55], a[148:149], a[20:21], v[52:55]// 000000007C68: D3E10034 1CD22994
	v_mfma_f32_16x16x16_bf16 v[52:55], a[150:151], a[22:23], v[52:55]// 000000007C70: D3E10034 1CD22D96
	ds_write_b64 v22, v[130:131] offset:24864                  // 000000007C78: D89A6120 00008216
	v_mfma_f32_16x16x16_bf16 v[52:55], a[152:153], a[24:25], v[52:55]// 000000007C80: D3E10034 1CD23198
	v_mfma_f32_16x16x16_bf16 v[52:55], a[154:155], a[26:27], v[52:55]// 000000007C88: D3E10034 1CD2359A
	ds_read_b128 v[108:111], v14 offset:13056                  // 000000007C90: D9FE3300 6C00000E
	ds_write_b32 v13, v36                                      // 000000007C98: D81A0000 0000240D
	v_mfma_f32_16x16x16_bf16 v[52:55], a[156:157], a[28:29], v[52:55]// 000000007CA0: D3E10034 1CD2399C
	v_mfma_f32_16x16x16_bf16 v[52:55], a[158:159], a[30:31], v[52:55]// 000000007CA8: D3E10034 1CD23D9E
	v_mfma_f32_16x16x16_bf16 v[56:59], a[144:145], a[32:33], 0 // 000000007CB0: D3E10038 1A024190
	ds_read_b128 v[112:115], v14 offset:13568                  // 000000007CB8: D9FE3500 7000000E
	ds_write_b32 v13, v37 offset:1056                          // 000000007CC0: D81A0420 0000250D
	v_mfma_f32_16x16x16_bf16 v[56:59], a[146:147], a[34:35], v[56:59]// 000000007CC8: D3E10038 1CE24592
	v_mfma_f32_16x16x16_bf16 v[56:59], a[148:149], a[36:37], v[56:59]// 000000007CD0: D3E10038 1CE24994
	v_mfma_f32_16x16x16_bf16 v[56:59], a[150:151], a[38:39], v[56:59]// 000000007CD8: D3E10038 1CE24D96
	ds_read_b128 v[116:119], v14 offset:15232                  // 000000007CE0: D9FE3B80 7400000E
	ds_write_b32 v13, v38 offset:128                           // 000000007CE8: D81A0080 0000260D
	v_mfma_f32_16x16x16_bf16 v[56:59], a[152:153], a[40:41], v[56:59]// 000000007CF0: D3E10038 1CE25198
	v_mfma_f32_16x16x16_bf16 v[56:59], a[154:155], a[42:43], v[56:59]// 000000007CF8: D3E10038 1CE2559A
	v_mfma_f32_16x16x16_bf16 v[56:59], a[156:157], a[44:45], v[56:59]// 000000007D00: D3E10038 1CE2599C
	ds_read_b128 v[120:123], v14 offset:15744                  // 000000007D08: D9FE3D80 7800000E
	ds_write_b32 v13, v39 offset:1184                          // 000000007D10: D81A04A0 0000270D
	v_mfma_f32_16x16x16_bf16 v[56:59], a[158:159], a[46:47], v[56:59]// 000000007D18: D3E10038 1CE25D9E
	s_cmp_lt_i32 s73, 3                                        // 000000007D20: BF048349
	s_cbranch_scc0 label_0FD9                                  // 000000007D24: BF84000F
	s_cmp_eq_i32 s73, 1                                        // 000000007D28: BF008149
	s_cbranch_scc1 label_0FCF                                  // 000000007D2C: BF850003
	s_cmp_eq_i32 s73, 2                                        // 000000007D30: BF008249
	s_cbranch_scc1 label_0FD4                                  // 000000007D34: BF850006
	s_branch label_0FD9                                        // 000000007D38: BF82000A

0000000000007d3c <label_0FCF>:
	v_mov_b32_e32 v52, v151                                    // 000000007D3C: 7E680397
	v_mov_b32_e32 v53, v151                                    // 000000007D40: 7E6A0397
	v_mov_b32_e32 v54, v151                                    // 000000007D44: 7E6C0397
	v_mov_b32_e32 v55, v151                                    // 000000007D48: 7E6E0397
	s_branch label_0FD4                                        // 000000007D4C: BF820000

0000000000007d50 <label_0FD4>:
	v_mov_b32_e32 v56, v151                                    // 000000007D50: 7E700397
	v_mov_b32_e32 v57, v151                                    // 000000007D54: 7E720397
	v_mov_b32_e32 v58, v151                                    // 000000007D58: 7E740397
	v_mov_b32_e32 v59, v151                                    // 000000007D5C: 7E760397
	s_branch label_0FD9                                        // 000000007D60: BF820000

0000000000007d64 <label_0FD9>:
	s_waitcnt lgkmcnt(8)                                       // 000000007D64: BF8CC87F
	s_barrier                                                  // 000000007D68: BF8A0000
	v_mfma_f32_16x16x16_bf16 v[72:75], v[92:93], a[96:97], 0   // 000000007D6C: D3E10048 1202C15C
	v_fma_f32 v48, v48, s57, -v124                             // 000000007D74: D1CB0030 85F07330
	v_fma_f32 v49, v49, s57, -v125                             // 000000007D7C: D1CB0031 85F47331
	v_fma_f32 v50, v50, s57, -v126                             // 000000007D84: D1CB0032 85F87332
	v_mfma_f32_16x16x16_bf16 v[72:75], v[94:95], a[98:99], v[72:75]// 000000007D8C: D3E10048 1522C55E
	ds_read_b128 a[144:147], v14 offset:4352                   // 000000007D94: DBFE1100 9000000E
	ds_read_b128 a[148:151], v14 offset:4864                   // 000000007D9C: DBFE1300 9400000E
	v_mfma_f32_16x16x16_bf16 v[72:75], v[96:97], a[100:101], v[72:75]// 000000007DA4: D3E10048 1522C960
	v_fma_f32 v51, v51, s57, -v127                             // 000000007DAC: D1CB0033 85FC7333
	v_fma_f32 v52, v52, s57, -v124                             // 000000007DB4: D1CB0034 85F07334
	v_fma_f32 v53, v53, s57, -v125                             // 000000007DBC: D1CB0035 85F47335
	v_mfma_f32_16x16x16_bf16 v[72:75], v[98:99], a[102:103], v[72:75]// 000000007DC4: D3E10048 1522CD62
	v_fma_f32 v54, v54, s57, -v126                             // 000000007DCC: D1CB0036 85F87336
	v_fma_f32 v55, v55, s57, -v127                             // 000000007DD4: D1CB0037 85FC7337
	v_fma_f32 v56, v56, s57, -v124                             // 000000007DDC: D1CB0038 85F07338
	v_mfma_f32_16x16x16_bf16 v[72:75], v[100:101], a[104:105], v[72:75]// 000000007DE4: D3E10048 1522D164
	v_fma_f32 v57, v57, s57, -v125                             // 000000007DEC: D1CB0039 85F47339
	v_fma_f32 v58, v58, s57, -v126                             // 000000007DF4: D1CB003A 85F8733A
	v_fma_f32 v59, v59, s57, -v127                             // 000000007DFC: D1CB003B 85FC733B
	v_mfma_f32_16x16x16_bf16 v[72:75], v[102:103], a[106:107], v[72:75]// 000000007E04: D3E10048 1522D566
	ds_read_b128 a[152:155], v14 offset:6528                   // 000000007E0C: DBFE1980 9800000E
	ds_read_b128 a[156:159], v14 offset:7040                   // 000000007E14: DBFE1B80 9C00000E
	v_mfma_f32_16x16x16_bf16 v[72:75], v[104:105], a[108:109], v[72:75]// 000000007E1C: D3E10048 1522D968
	v_exp_f32_e32 v48, v48                                     // 000000007E24: 7E604130
	v_mfma_f32_16x16x16_bf16 v[72:75], v[106:107], a[110:111], v[72:75]// 000000007E28: D3E10048 1522DD6A
	v_exp_f32_e32 v49, v49                                     // 000000007E30: 7E624131
	v_mfma_f32_16x16x16_bf16 v[76:79], v[92:93], a[112:113], 0 // 000000007E34: D3E1004C 1202E15C
	v_exp_f32_e32 v50, v50                                     // 000000007E3C: 7E644132
	v_mfma_f32_16x16x16_bf16 v[76:79], v[94:95], a[114:115], v[76:79]// 000000007E40: D3E1004C 1532E55E
	ds_read_b32 v136, v21 offset:24320                         // 000000007E48: D86C5F00 88000015
	ds_read_b32 v137, v21 offset:24336                         // 000000007E50: D86C5F10 89000015
	v_mfma_f32_16x16x16_bf16 v[76:79], v[96:97], a[116:117], v[76:79]// 000000007E58: D3E1004C 1532E960
	v_exp_f32_e32 v51, v51                                     // 000000007E60: 7E664133
	v_mfma_f32_16x16x16_bf16 v[76:79], v[98:99], a[118:119], v[76:79]// 000000007E64: D3E1004C 1532ED62
	ds_read_b32 v138, v21 offset:26496                         // 000000007E6C: D86C6780 8A000015
	ds_read_b32 v139, v21 offset:26512                         // 000000007E74: D86C6790 8B000015
	v_mfma_f32_16x16x16_bf16 v[76:79], v[100:101], a[120:121], v[76:79]// 000000007E7C: D3E1004C 1532F164
	v_exp_f32_e32 v52, v52                                     // 000000007E84: 7E684134
	v_mfma_f32_16x16x16_bf16 v[76:79], v[102:103], a[122:123], v[76:79]// 000000007E88: D3E1004C 1532F566
	v_exp_f32_e32 v53, v53                                     // 000000007E90: 7E6A4135
	v_mfma_f32_16x16x16_bf16 v[76:79], v[104:105], a[124:125], v[76:79]// 000000007E94: D3E1004C 1532F968
	v_exp_f32_e32 v54, v54                                     // 000000007E9C: 7E6C4136
	v_mfma_f32_16x16x16_bf16 v[76:79], v[106:107], a[126:127], v[76:79]// 000000007EA0: D3E1004C 1532FD6A
	v_exp_f32_e32 v55, v55                                     // 000000007EA8: 7E6E4137
	v_mfma_f32_16x16x16_bf16 v[80:83], v[92:93], a[128:129], 0 // 000000007EAC: D3E10050 1203015C
	v_exp_f32_e32 v56, v56                                     // 000000007EB4: 7E704138
	v_mfma_f32_16x16x16_bf16 v[80:83], v[94:95], a[130:131], v[80:83]// 000000007EB8: D3E10050 1543055E
	v_exp_f32_e32 v57, v57                                     // 000000007EC0: 7E724139
	v_mfma_f32_16x16x16_bf16 v[80:83], v[96:97], a[132:133], v[80:83]// 000000007EC4: D3E10050 15430960
	v_exp_f32_e32 v58, v58                                     // 000000007ECC: 7E74413A
	v_mfma_f32_16x16x16_bf16 v[80:83], v[98:99], a[134:135], v[80:83]// 000000007ED0: D3E10050 15430D62
	v_exp_f32_e32 v59, v59                                     // 000000007ED8: 7E76413B
	v_mfma_f32_16x16x16_bf16 v[80:83], v[100:101], a[136:137], v[80:83]// 000000007EDC: D3E10050 15431164
	v_cmp_u_f32_e64 s[74:75], v48, v48                         // 000000007EE4: D048004A 00026130
	v_add3_u32 v248, v48, v251, 1                              // 000000007EEC: D1FF00F8 0207F730
	v_cndmask_b32_e64 v28, v248, v250, s[74:75]                // 000000007EF4: D100001C 012BF5F8
	v_cmp_u_f32_e64 s[74:75], v49, v49                         // 000000007EFC: D048004A 00026331
	v_add3_u32 v248, v49, v251, 1                              // 000000007F04: D1FF00F8 0207F731
	v_cndmask_b32_e64 v29, v248, v250, s[74:75]                // 000000007F0C: D100001D 012BF5F8
	v_perm_b32 v144, v29, v28, s64                             // 000000007F14: D1ED0090 0102391D
	v_cmp_u_f32_e64 s[74:75], v50, v50                         // 000000007F1C: D048004A 00026532
	v_add3_u32 v248, v50, v251, 1                              // 000000007F24: D1FF00F8 0207F732
	v_cndmask_b32_e64 v28, v248, v250, s[74:75]                // 000000007F2C: D100001C 012BF5F8
	v_cmp_u_f32_e64 s[74:75], v51, v51                         // 000000007F34: D048004A 00026733
	v_add3_u32 v248, v51, v251, 1                              // 000000007F3C: D1FF00F8 0207F733
	v_cndmask_b32_e64 v29, v248, v250, s[74:75]                // 000000007F44: D100001D 012BF5F8
	v_perm_b32 v145, v29, v28, s64                             // 000000007F4C: D1ED0091 0102391D
	v_cmp_u_f32_e64 s[74:75], v52, v52                         // 000000007F54: D048004A 00026934
	v_add3_u32 v248, v52, v251, 1                              // 000000007F5C: D1FF00F8 0207F734
	v_cndmask_b32_e64 v28, v248, v250, s[74:75]                // 000000007F64: D100001C 012BF5F8
	v_cmp_u_f32_e64 s[74:75], v53, v53                         // 000000007F6C: D048004A 00026B35
	v_add3_u32 v248, v53, v251, 1                              // 000000007F74: D1FF00F8 0207F735
	v_cndmask_b32_e64 v29, v248, v250, s[74:75]                // 000000007F7C: D100001D 012BF5F8
	v_perm_b32 v146, v29, v28, s64                             // 000000007F84: D1ED0092 0102391D
	v_mfma_f32_16x16x16_bf16 v[80:83], v[102:103], a[138:139], v[80:83]// 000000007F8C: D3E10050 15431566
	v_cmp_u_f32_e64 s[74:75], v54, v54                         // 000000007F94: D048004A 00026D36
	v_add3_u32 v248, v54, v251, 1                              // 000000007F9C: D1FF00F8 0207F736
	v_cndmask_b32_e64 v28, v248, v250, s[74:75]                // 000000007FA4: D100001C 012BF5F8
	v_cmp_u_f32_e64 s[74:75], v55, v55                         // 000000007FAC: D048004A 00026F37
	v_add3_u32 v248, v55, v251, 1                              // 000000007FB4: D1FF00F8 0207F737
	v_cndmask_b32_e64 v29, v248, v250, s[74:75]                // 000000007FBC: D100001D 012BF5F8
	v_perm_b32 v147, v29, v28, s64                             // 000000007FC4: D1ED0093 0102391D
	v_cmp_u_f32_e64 s[74:75], v56, v56                         // 000000007FCC: D048004A 00027138
	v_add3_u32 v248, v56, v251, 1                              // 000000007FD4: D1FF00F8 0207F738
	v_cndmask_b32_e64 v28, v248, v250, s[74:75]                // 000000007FDC: D100001C 012BF5F8
	v_cmp_u_f32_e64 s[74:75], v57, v57                         // 000000007FE4: D048004A 00027339
	v_add3_u32 v248, v57, v251, 1                              // 000000007FEC: D1FF00F8 0207F739
	v_cndmask_b32_e64 v29, v248, v250, s[74:75]                // 000000007FF4: D100001D 012BF5F8
	v_perm_b32 v148, v29, v28, s64                             // 000000007FFC: D1ED0094 0102391D
	v_cmp_u_f32_e64 s[74:75], v58, v58                         // 000000008004: D048004A 0002753A
	v_add3_u32 v248, v58, v251, 1                              // 00000000800C: D1FF00F8 0207F73A
	v_cndmask_b32_e64 v28, v248, v250, s[74:75]                // 000000008014: D100001C 012BF5F8
	v_cmp_u_f32_e64 s[74:75], v59, v59                         // 00000000801C: D048004A 0002773B
	v_add3_u32 v248, v59, v251, 1                              // 000000008024: D1FF00F8 0207F73B
	v_cndmask_b32_e64 v29, v248, v250, s[74:75]                // 00000000802C: D100001D 012BF5F8
	v_perm_b32 v149, v29, v28, s64                             // 000000008034: D1ED0095 0102391D
	v_mfma_f32_16x16x16_bf16 v[80:83], v[104:105], a[140:141], v[80:83]// 00000000803C: D3E10050 15431968
	s_add_u32 s32, s66, s32                                    // 000000008044: 80202042
	s_addc_u32 s33, 0, s33                                     // 000000008048: 82212180
	v_mfma_f32_16x16x16_bf16 v[80:83], v[106:107], a[142:143], v[80:83]// 00000000804C: D3E10050 15431D6A
	s_waitcnt lgkmcnt(0)                                       // 000000008054: BF8CC07F
	s_barrier                                                  // 000000008058: BF8A0000
	v_mfma_f32_16x16x16_bf16 v[152:155], v[108:109], v[144:145], v[152:155]// 00000000805C: D3E10098 0663216C
	v_subrev_f32_dpp v72, v150, v72 quad_perm:[0,0,0,0] row_mask:0xf bank_mask:0xf// 000000008064: 069090FA FF000096
	v_subrev_f32_dpp v73, v150, v73 quad_perm:[1,1,1,1] row_mask:0xf bank_mask:0xf// 00000000806C: 069292FA FF005596
	v_subrev_f32_dpp v74, v150, v74 quad_perm:[2,2,2,2] row_mask:0xf bank_mask:0xf// 000000008074: 069494FA FF00AA96
	v_mfma_f32_16x16x16_bf16 v[156:159], v[110:111], v[144:145], v[156:159]// 00000000807C: D3E1009C 0673216E
	v_subrev_f32_dpp v75, v150, v75 quad_perm:[3,3,3,3] row_mask:0xf bank_mask:0xf// 000000008084: 069696FA FF00FF96
	v_subrev_f32_dpp v76, v150, v76 quad_perm:[0,0,0,0] row_mask:0xf bank_mask:0xf// 00000000808C: 069898FA FF000096
	v_subrev_f32_dpp v77, v150, v77 quad_perm:[1,1,1,1] row_mask:0xf bank_mask:0xf// 000000008094: 069A9AFA FF005596
	v_mfma_f32_16x16x16_bf16 v[160:163], v[112:113], v[144:145], v[160:163]// 00000000809C: D3E100A0 06832170
	v_mul_f32_e32 v72, v48, v72                                // 0000000080A4: 0A909130
	v_mul_f32_e32 v73, v49, v73                                // 0000000080A8: 0A929331
	v_mul_f32_e32 v74, v50, v74                                // 0000000080AC: 0A949532
	v_mfma_f32_16x16x16_bf16 v[164:167], v[114:115], v[144:145], v[164:167]// 0000000080B0: D3E100A4 06932172
	v_mul_f32_e32 v75, v51, v75                                // 0000000080B8: 0A969733
	v_mul_f32_e32 v76, v52, v76                                // 0000000080BC: 0A989934
	v_mul_f32_e32 v77, v53, v77                                // 0000000080C0: 0A9A9B35
	v_mfma_f32_16x16x16_bf16 v[168:171], v[116:117], v[144:145], v[168:171]// 0000000080C4: D3E100A8 06A32174
	v_cmp_u_f32_e64 s[74:75], v72, v72                         // 0000000080CC: D048004A 00029148
	v_add3_u32 v248, v72, v251, 1                              // 0000000080D4: D1FF00F8 0207F748
	v_cndmask_b32_e64 v28, v248, v250, s[74:75]                // 0000000080DC: D100001C 012BF5F8
	v_cmp_u_f32_e64 s[74:75], v73, v73                         // 0000000080E4: D048004A 00029349
	v_add3_u32 v248, v73, v251, 1                              // 0000000080EC: D1FF00F8 0207F749
	v_cndmask_b32_e64 v29, v248, v250, s[74:75]                // 0000000080F4: D100001D 012BF5F8
	v_perm_b32 v72, v29, v28, s64                              // 0000000080FC: D1ED0048 0102391D
	v_cmp_u_f32_e64 s[74:75], v74, v74                         // 000000008104: D048004A 0002954A
	v_add3_u32 v248, v74, v251, 1                              // 00000000810C: D1FF00F8 0207F74A
	v_cndmask_b32_e64 v28, v248, v250, s[74:75]                // 000000008114: D100001C 012BF5F8
	v_cmp_u_f32_e64 s[74:75], v75, v75                         // 00000000811C: D048004A 0002974B
	v_add3_u32 v248, v75, v251, 1                              // 000000008124: D1FF00F8 0207F74B
	v_cndmask_b32_e64 v29, v248, v250, s[74:75]                // 00000000812C: D100001D 012BF5F8
	v_perm_b32 v73, v29, v28, s64                              // 000000008134: D1ED0049 0102391D
	v_cmp_u_f32_e64 s[74:75], v76, v76                         // 00000000813C: D048004A 0002994C
	v_add3_u32 v248, v76, v251, 1                              // 000000008144: D1FF00F8 0207F74C
	v_cndmask_b32_e64 v28, v248, v250, s[74:75]                // 00000000814C: D100001C 012BF5F8
	v_cmp_u_f32_e64 s[74:75], v77, v77                         // 000000008154: D048004A 00029B4D
	v_add3_u32 v248, v77, v251, 1                              // 00000000815C: D1FF00F8 0207F74D
	v_cndmask_b32_e64 v29, v248, v250, s[74:75]                // 000000008164: D100001D 012BF5F8
	v_perm_b32 v74, v29, v28, s64                              // 00000000816C: D1ED004A 0102391D
	v_mfma_f32_16x16x16_bf16 v[172:175], v[118:119], v[144:145], v[172:175]// 000000008174: D3E100AC 06B32176
	v_mov_b32_dpp v18, v72 quad_perm:[1,0,3,2] row_mask:0xf bank_mask:0xf// 00000000817C: 7E2402FA FF00B148
	v_perm_b32 v48, v18, v72, v17                              // 000000008184: D1ED0030 04469112
	v_mov_b32_dpp v18, v73 quad_perm:[1,0,3,2] row_mask:0xf bank_mask:0xf// 00000000818C: 7E2402FA FF00B149
	v_mfma_f32_16x16x16_bf16 v[176:179], v[120:121], v[144:145], v[176:179]// 000000008194: D3E100B0 06C32178
	ds_write_b32 v20, v48 offset:17408                         // 00000000819C: D81A4400 00003014
	v_mfma_f32_16x16x16_bf16 v[180:183], v[122:123], v[144:145], v[180:183]// 0000000081A4: D3E100B4 06D3217A
	v_perm_b32 v49, v18, v73, v17                              // 0000000081AC: D1ED0031 04469312
	v_mov_b32_dpp v18, v74 quad_perm:[1,0,3,2] row_mask:0xf bank_mask:0xf// 0000000081B4: 7E2402FA FF00B14A
	v_perm_b32 v50, v18, v74, v17                              // 0000000081BC: D1ED0032 04469512
	v_mfma_f32_16x16x16_bf16 v[184:187], v[108:109], v[146:147], v[184:187]// 0000000081C4: D3E100B8 06E3256C
	ds_write_b32 v20, v49 offset:17952                         // 0000000081CC: D81A4620 00003114
	v_mfma_f32_16x16x16_bf16 v[188:191], v[110:111], v[146:147], v[188:191]// 0000000081D4: D3E100BC 06F3256E
	v_subrev_f32_dpp v78, v150, v78 quad_perm:[2,2,2,2] row_mask:0xf bank_mask:0xf// 0000000081DC: 069C9CFA FF00AA96
	v_subrev_f32_dpp v79, v150, v79 quad_perm:[3,3,3,3] row_mask:0xf bank_mask:0xf// 0000000081E4: 069E9EFA FF00FF96
	v_subrev_f32_dpp v80, v150, v80 quad_perm:[0,0,0,0] row_mask:0xf bank_mask:0xf// 0000000081EC: 06A0A0FA FF000096
	v_mfma_f32_16x16x16_bf16 v[192:195], v[112:113], v[146:147], v[192:195]// 0000000081F4: D3E100C0 07032570
	ds_write_b32 v20, v50 offset:19712                         // 0000000081FC: D81A4D00 00003214
	v_mfma_f32_16x16x16_bf16 v[196:199], v[114:115], v[146:147], v[196:199]// 000000008204: D3E100C4 07132572
	v_subrev_f32_dpp v81, v150, v81 quad_perm:[1,1,1,1] row_mask:0xf bank_mask:0xf// 00000000820C: 06A2A2FA FF005596
	v_subrev_f32_dpp v82, v150, v82 quad_perm:[2,2,2,2] row_mask:0xf bank_mask:0xf// 000000008214: 06A4A4FA FF00AA96
	v_subrev_f32_dpp v83, v150, v83 quad_perm:[3,3,3,3] row_mask:0xf bank_mask:0xf// 00000000821C: 06A6A6FA FF00FF96
	v_mfma_f32_16x16x16_bf16 v[200:203], v[116:117], v[146:147], v[200:203]// 000000008224: D3E100C8 07232574
	v_mul_f32_e32 v78, v54, v78                                // 00000000822C: 0A9C9D36
	v_mul_f32_e32 v79, v55, v79                                // 000000008230: 0A9E9F37
	v_mul_f32_e32 v80, v56, v80                                // 000000008234: 0AA0A138
	v_mfma_f32_16x16x16_bf16 v[204:207], v[118:119], v[146:147], v[204:207]// 000000008238: D3E100CC 07332576
	v_mul_f32_e32 v81, v57, v81                                // 000000008240: 0AA2A339
	v_mul_f32_e32 v82, v58, v82                                // 000000008244: 0AA4A53A
	v_mul_f32_e32 v83, v59, v83                                // 000000008248: 0AA6A73B
	v_mfma_f32_16x16x16_bf16 v[208:211], v[120:121], v[146:147], v[208:211]// 00000000824C: D3E100D0 07432578
	v_cmp_u_f32_e64 s[74:75], v78, v78                         // 000000008254: D048004A 00029D4E
	v_add3_u32 v248, v78, v251, 1                              // 00000000825C: D1FF00F8 0207F74E
	v_cndmask_b32_e64 v28, v248, v250, s[74:75]                // 000000008264: D100001C 012BF5F8
	v_cmp_u_f32_e64 s[74:75], v79, v79                         // 00000000826C: D048004A 00029F4F
	v_add3_u32 v248, v79, v251, 1                              // 000000008274: D1FF00F8 0207F74F
	v_cndmask_b32_e64 v29, v248, v250, s[74:75]                // 00000000827C: D100001D 012BF5F8
	v_perm_b32 v75, v29, v28, s64                              // 000000008284: D1ED004B 0102391D
	v_cmp_u_f32_e64 s[74:75], v80, v80                         // 00000000828C: D048004A 0002A150
	v_add3_u32 v248, v80, v251, 1                              // 000000008294: D1FF00F8 0207F750
	v_cndmask_b32_e64 v28, v248, v250, s[74:75]                // 00000000829C: D100001C 012BF5F8
	v_cmp_u_f32_e64 s[74:75], v81, v81                         // 0000000082A4: D048004A 0002A351
	v_add3_u32 v248, v81, v251, 1                              // 0000000082AC: D1FF00F8 0207F751
	v_cndmask_b32_e64 v29, v248, v250, s[74:75]                // 0000000082B4: D100001D 012BF5F8
	v_perm_b32 v76, v29, v28, s64                              // 0000000082BC: D1ED004C 0102391D
	v_cmp_u_f32_e64 s[74:75], v82, v82                         // 0000000082C4: D048004A 0002A552
	v_add3_u32 v248, v82, v251, 1                              // 0000000082CC: D1FF00F8 0207F752
	v_cndmask_b32_e64 v28, v248, v250, s[74:75]                // 0000000082D4: D100001C 012BF5F8
	v_cmp_u_f32_e64 s[74:75], v83, v83                         // 0000000082DC: D048004A 0002A753
	v_add3_u32 v248, v83, v251, 1                              // 0000000082E4: D1FF00F8 0207F753
	v_cndmask_b32_e64 v29, v248, v250, s[74:75]                // 0000000082EC: D100001D 012BF5F8
	v_perm_b32 v77, v29, v28, s64                              // 0000000082F4: D1ED004D 0102391D
	v_mfma_f32_16x16x16_bf16 v[212:215], v[122:123], v[146:147], v[212:215]// 0000000082FC: D3E100D4 0753257A
	v_mov_b32_dpp v18, v75 quad_perm:[1,0,3,2] row_mask:0xf bank_mask:0xf// 000000008304: 7E2402FA FF00B14B
	v_perm_b32 v51, v18, v75, v17                              // 00000000830C: D1ED0033 04469712
	v_mov_b32_dpp v18, v76 quad_perm:[1,0,3,2] row_mask:0xf bank_mask:0xf// 000000008314: 7E2402FA FF00B14C
	v_mfma_f32_16x16x16_bf16 v[216:219], v[108:109], v[148:149], v[216:219]// 00000000831C: D3E100D8 0763296C
	ds_write_b32 v20, v51 offset:20256                         // 000000008324: D81A4F20 00003314
	v_mfma_f32_16x16x16_bf16 v[220:223], v[110:111], v[148:149], v[220:223]// 00000000832C: D3E100DC 0773296E
	v_perm_b32 v52, v18, v76, v17                              // 000000008334: D1ED0034 04469912
	v_mov_b32_dpp v18, v77 quad_perm:[1,0,3,2] row_mask:0xf bank_mask:0xf// 00000000833C: 7E2402FA FF00B14D
	v_perm_b32 v53, v18, v77, v17                              // 000000008344: D1ED0035 04469B12
	v_mfma_f32_16x16x16_bf16 v[224:227], v[112:113], v[148:149], v[224:227]// 00000000834C: D3E100E0 07832970
	ds_write_b32 v20, v52 offset:22016                         // 000000008354: D81A5600 00003414
	ds_write_b32 v20, v53 offset:22560                         // 00000000835C: D81A5820 00003514
	v_mfma_f32_16x16x16_bf16 v[228:231], v[114:115], v[148:149], v[228:231]// 000000008364: D3E100E4 07932972
	v_mfma_f32_16x16x16_bf16 v[232:235], v[116:117], v[148:149], v[232:235]// 00000000836C: D3E100E8 07A32974
	ds_write_b32 v15, v84 offset:4352                          // 000000008374: D81A1100 0000540F
	ds_write_b32 v15, v85 offset:5408                          // 00000000837C: D81A1520 0000550F
	v_mfma_f32_16x16x16_bf16 v[236:239], v[118:119], v[148:149], v[236:239]// 000000008384: D3E100EC 07B32976
	v_mfma_f32_16x16x16_bf16 v[240:243], v[120:121], v[148:149], v[240:243]// 00000000838C: D3E100F0 07C32978
	ds_write_b32 v15, v86 offset:4480                          // 000000008394: D81A1180 0000560F
	ds_write_b32 v15, v87 offset:5536                          // 00000000839C: D81A15A0 0000570F
	v_mfma_f32_16x16x16_bf16 v[244:247], v[122:123], v[148:149], v[244:247]// 0000000083A4: D3E100F4 07D3297A
	s_nop 0                                                    // 0000000083AC: BF800000
	s_nop 0                                                    // 0000000083B0: BF800000
	s_nop 0                                                    // 0000000083B4: BF800000
	s_barrier                                                  // 0000000083B8: BF8A0000
	v_mfma_f32_16x16x16_bf16 a[160:163], a[144:145], v[72:73], a[160:163]// 0000000083BC: D3E180A0 0E829190
	ds_read_b32 v124, v23 offset:51200                         // 0000000083C4: D86CC800 7C000017
	ds_read_b32 v150, v23 offset:51456                         // 0000000083CC: D86CC900 96000017
	v_mfma_f32_16x16x16_bf16 a[164:167], a[146:147], v[72:73], a[164:167]// 0000000083D4: D3E180A4 0E929192
	global_atomic_pk_add_bf16 v6, v136, s[32:33]               // 0000000083DC: DD488000 00208806
	v_mfma_f32_16x16x16_bf16 a[168:171], a[148:149], v[72:73], a[168:171]// 0000000083E4: D3E180A8 0EA29194
	s_waitcnt lgkmcnt(6)                                       // 0000000083EC: BF8CC67F
	s_barrier                                                  // 0000000083F0: BF8A0000
	v_mfma_f32_16x16x16_bf16 a[172:175], a[150:151], v[72:73], a[172:175]// 0000000083F4: D3E180AC 0EB29196
	v_mfma_f32_16x16x16_bf16 a[176:179], a[152:153], v[72:73], a[176:179]// 0000000083FC: D3E180B0 0EC29198
	ds_read_b128 v[48:51], v19 offset:17408                    // 000000008404: D9FE4400 30000013
	v_mfma_f32_16x16x16_bf16 a[180:183], a[154:155], v[72:73], a[180:183]// 00000000840C: D3E180B4 0ED2919A
	v_mfma_f32_16x16x16_bf16 a[184:187], a[156:157], v[72:73], a[184:187]// 000000008414: D3E180B8 0EE2919C
	ds_read_b128 v[52:55], v19 offset:18560                    // 00000000841C: D9FE4880 34000013
	v_mfma_f32_16x16x16_bf16 a[188:191], a[158:159], v[72:73], a[188:191]// 000000008424: D3E180BC 0EF2919E
	global_atomic_pk_add_bf16 v8, v137, s[32:33]               // 00000000842C: DD488000 00208908
	v_mfma_f32_16x16x16_bf16 a[192:195], a[144:145], v[74:75], a[192:195]// 000000008434: D3E180C0 0F029590
	ds_read_b128 v[56:59], v19 offset:19712                    // 00000000843C: D9FE4D00 38000013
	v_mfma_f32_16x16x16_bf16 a[196:199], a[146:147], v[74:75], a[196:199]// 000000008444: D3E180C4 0F129592
	v_mfma_f32_16x16x16_bf16 a[200:203], a[148:149], v[74:75], a[200:203]// 00000000844C: D3E180C8 0F229594
	ds_read_b128 v[60:63], v19 offset:20864                    // 000000008454: D9FE5180 3C000013
	v_mfma_f32_16x16x16_bf16 a[204:207], a[150:151], v[74:75], a[204:207]// 00000000845C: D3E180CC 0F329596
	v_mfma_f32_16x16x16_bf16 a[208:211], a[152:153], v[74:75], a[208:211]// 000000008464: D3E180D0 0F429598
	ds_read_b128 v[64:67], v19 offset:22016                    // 00000000846C: D9FE5600 40000013
	v_mfma_f32_16x16x16_bf16 a[212:215], a[154:155], v[74:75], a[212:215]// 000000008474: D3E180D4 0F52959A
	s_mov_b64 exec, s[92:93]                                   // 00000000847C: BEFE015C
	global_atomic_pk_add_bf16 v6, v138, s[32:33] offset:128    // 000000008480: DD488080 00208A06
	s_mov_b64 exec, s[86:87]                                   // 000000008488: BEFE0156
	v_mfma_f32_16x16x16_bf16 a[216:219], a[156:157], v[74:75], a[216:219]// 00000000848C: D3E180D8 0F62959C
	ds_read_b128 v[68:71], v19 offset:23168                    // 000000008494: D9FE5A80 44000013
	v_mfma_f32_16x16x16_bf16 a[220:223], a[158:159], v[74:75], a[220:223]// 00000000849C: D3E180DC 0F72959E
	v_mfma_f32_16x16x16_bf16 a[224:227], a[144:145], v[76:77], a[224:227]// 0000000084A4: D3E180E0 0F829990
	ds_write_b32 v15, v88 offset:13056                         // 0000000084AC: D81A3300 0000580F
	v_mfma_f32_16x16x16_bf16 a[228:231], a[146:147], v[76:77], a[228:231]// 0000000084B4: D3E180E4 0F929992
	v_mfma_f32_16x16x16_bf16 a[232:235], a[148:149], v[76:77], a[232:235]// 0000000084BC: D3E180E8 0FA29994
	ds_write_b32 v15, v89 offset:14112                         // 0000000084C4: D81A3720 0000590F
	v_mfma_f32_16x16x16_bf16 a[236:239], a[150:151], v[76:77], a[236:239]// 0000000084CC: D3E180EC 0FB29996
	s_mov_b64 exec, s[92:93]                                   // 0000000084D4: BEFE015C
	global_atomic_pk_add_bf16 v8, v139, s[32:33] offset:128    // 0000000084D8: DD488080 00208B08
	s_mov_b64 exec, s[86:87]                                   // 0000000084E0: BEFE0156
	v_mfma_f32_16x16x16_bf16 a[240:243], a[152:153], v[76:77], a[240:243]// 0000000084E4: D3E180F0 0FC29998
	ds_write_b32 v15, v90 offset:13184                         // 0000000084EC: D81A3380 00005A0F
	v_mfma_f32_16x16x16_bf16 a[244:247], a[154:155], v[76:77], a[244:247]// 0000000084F4: D3E180F4 0FD2999A
	v_mfma_f32_16x16x16_bf16 a[248:251], a[156:157], v[76:77], a[248:251]// 0000000084FC: D3E180F8 0FE2999C
	ds_write_b32 v15, v91 offset:14240                         // 000000008504: D81A37A0 00005B0F
	v_mfma_f32_16x16x16_bf16 a[252:255], a[158:159], v[76:77], a[252:255]// 00000000850C: D3E180FC 0FF2999E
	s_waitcnt vmcnt(4) lgkmcnt(4)                              // 000000008514: BF8C0474
	s_barrier                                                  // 000000008518: BF8A0000
	v_mfma_f32_16x16x16_bf16 v[128:131], a[48:49], v[48:49], 0 // 00000000851C: D3E10080 0A026130
	ds_read_b128 a[144:147], v12                               // 000000008524: DBFE0000 9000000C
	v_mov_b32_e32 v36, 0                                       // 00000000852C: 7E480280
	s_mov_b64 exec, s[88:89]                                   // 000000008530: BEFE0158
	buffer_load_dword v36, v1, s[8:11], 0 idxen                // 000000008534: E0502000 80022401
	s_mov_b64 exec, s[86:87]                                   // 00000000853C: BEFE0156
	v_mfma_f32_16x16x16_bf16 v[128:131], a[52:53], v[50:51], v[128:131]// 000000008540: D3E10080 0E026534
	v_mul_f32_e32 v124, s49, v124                              // 000000008548: 0AF8F831
	s_nop 0                                                    // 00000000854C: BF800000
	v_mfma_f32_16x16x16_bf16 v[128:131], a[56:57], v[52:53], v[128:131]// 000000008550: D3E10080 0E026938
	ds_read_b128 a[148:151], v12 offset:512                    // 000000008558: DBFE0200 9400000C
	v_mov_b32_e32 v37, 0                                       // 000000008560: 7E4A0280
	s_mov_b64 exec, s[88:89]                                   // 000000008564: BEFE0158
	buffer_load_dword v37, v2, s[8:11], 0 idxen                // 000000008568: E0502000 80022502
	s_mov_b64 exec, s[86:87]                                   // 000000008570: BEFE0156
	v_mfma_f32_16x16x16_bf16 v[128:131], a[60:61], v[54:55], v[128:131]// 000000008574: D3E10080 0E026D3C
	v_mfma_f32_16x16x16_bf16 v[128:131], a[64:65], v[56:57], v[128:131]// 00000000857C: D3E10080 0E027140
	ds_read_b128 a[152:155], v12 offset:2176                   // 000000008584: DBFE0880 9800000C
	v_mov_b32_e32 v38, 0                                       // 00000000858C: 7E4C0280
	s_mov_b64 exec, s[88:89]                                   // 000000008590: BEFE0158
	buffer_load_dword v38, v3, s[8:11], 0 idxen                // 000000008594: E0502000 80022603
	s_mov_b64 exec, s[86:87]                                   // 00000000859C: BEFE0156
	v_mfma_f32_16x16x16_bf16 v[128:131], a[68:69], v[58:59], v[128:131]// 0000000085A0: D3E10080 0E027544
	v_perm_b32 v84, v33, v32, s63                              // 0000000085A8: D1ED0054 00FE4121
	v_perm_b32 v85, v33, v32, s64                              // 0000000085B0: D1ED0055 01024121
	v_mfma_f32_16x16x16_bf16 v[128:131], a[72:73], v[60:61], v[128:131]// 0000000085B8: D3E10080 0E027948
	ds_read_b128 a[156:159], v12 offset:2688                   // 0000000085C0: DBFE0A80 9C00000C
	v_mov_b32_e32 v39, 0                                       // 0000000085C8: 7E4E0280
	s_mov_b64 exec, s[88:89]                                   // 0000000085CC: BEFE0158
	buffer_load_dword v39, v4, s[8:11], 0 idxen                // 0000000085D0: E0502000 80022704
	s_mov_b64 exec, s[86:87]                                   // 0000000085D8: BEFE0156
	v_mfma_f32_16x16x16_bf16 v[128:131], a[76:77], v[62:63], v[128:131]// 0000000085DC: D3E10080 0E027D4C
	v_perm_b32 v86, v35, v34, s63                              // 0000000085E4: D1ED0056 00FE4523
	v_perm_b32 v87, v35, v34, s64                              // 0000000085EC: D1ED0057 01024523
	v_mfma_f32_16x16x16_bf16 v[128:131], a[80:81], v[64:65], v[128:131]// 0000000085F4: D3E10080 0E028150
	ds_read_b128 v[92:95], v12 offset:8704                     // 0000000085FC: D9FE2200 5C00000C
	v_mov_b32_e32 v44, 0                                       // 000000008604: 7E580280
	s_mov_b64 exec, s[88:89]                                   // 000000008608: BEFE0158
	buffer_load_dword v44, v1, s[20:23], 0 idxen               // 00000000860C: E0502000 80052C01
	s_mov_b64 exec, s[86:87]                                   // 000000008614: BEFE0156
	v_mfma_f32_16x16x16_bf16 v[128:131], a[84:85], v[66:67], v[128:131]// 000000008618: D3E10080 0E028554
	v_perm_b32 v88, v41, v40, s63                              // 000000008620: D1ED0058 00FE5129
	v_perm_b32 v89, v41, v40, s64                              // 000000008628: D1ED0059 01025129
	v_mfma_f32_16x16x16_bf16 v[128:131], a[88:89], v[68:69], v[128:131]// 000000008630: D3E10080 0E028958
	ds_read_b128 v[96:99], v12 offset:9216                     // 000000008638: D9FE2400 6000000C
	v_mov_b32_e32 v45, 0                                       // 000000008640: 7E5A0280
	s_mov_b64 exec, s[88:89]                                   // 000000008644: BEFE0158
	buffer_load_dword v45, v2, s[20:23], 0 idxen               // 000000008648: E0502000 80052D02
	s_mov_b64 exec, s[86:87]                                   // 000000008650: BEFE0156
	v_mfma_f32_16x16x16_bf16 v[128:131], a[92:93], v[70:71], v[128:131]// 000000008654: D3E10080 0E028D5C
	v_perm_b32 v90, v43, v42, s63                              // 00000000865C: D1ED005A 00FE552B
	v_perm_b32 v91, v43, v42, s64                              // 000000008664: D1ED005B 0102552B
	v_mfma_f32_16x16x16_bf16 v[132:135], a[50:51], v[48:49], 0 // 00000000866C: D3E10084 0A026132
	ds_read_b128 v[100:103], v12 offset:10880                  // 000000008674: D9FE2A80 6400000C
	v_mov_b32_e32 v46, 0                                       // 00000000867C: 7E5C0280
	s_mov_b64 exec, s[88:89]                                   // 000000008680: BEFE0158
	buffer_load_dword v46, v3, s[20:23], 0 idxen               // 000000008684: E0502000 80052E03
	s_mov_b64 exec, s[86:87]                                   // 00000000868C: BEFE0156
	v_mfma_f32_16x16x16_bf16 v[132:135], a[54:55], v[50:51], v[132:135]// 000000008690: D3E10084 0E126536
	v_mov_b32_dpp v127, v124 quad_perm:[3,3,3,3] row_mask:0xf bank_mask:0xf// 000000008698: 7EFE02FA FF00FF7C
	v_mov_b32_dpp v126, v124 quad_perm:[2,2,2,2] row_mask:0xf bank_mask:0xf// 0000000086A0: 7EFC02FA FF00AA7C
	v_mfma_f32_16x16x16_bf16 v[132:135], a[58:59], v[52:53], v[132:135]// 0000000086A8: D3E10084 0E12693A
	ds_read_b128 v[104:107], v12 offset:11392                  // 0000000086B0: D9FE2C80 6800000C
	v_mov_b32_e32 v47, 0                                       // 0000000086B8: 7E5E0280
	s_mov_b64 exec, s[88:89]                                   // 0000000086BC: BEFE0158
	buffer_load_dword v47, v4, s[20:23], 0 idxen               // 0000000086C0: E0502000 80052F04
	s_mov_b64 exec, s[86:87]                                   // 0000000086C8: BEFE0156
	v_mfma_f32_16x16x16_bf16 v[132:135], a[62:63], v[54:55], v[132:135]// 0000000086CC: D3E10084 0E126D3E
	v_mov_b32_dpp v125, v124 quad_perm:[1,1,1,1] row_mask:0xf bank_mask:0xf// 0000000086D4: 7EFA02FA FF00557C
	v_mov_b32_dpp v124, v124 quad_perm:[0,0,0,0] row_mask:0xf bank_mask:0xf// 0000000086DC: 7EF802FA FF00007C
	s_add_u32 s60, 64, s59                                     // 0000000086E4: 803C3BC0
	v_mfma_f32_16x16x16_bf16 v[132:135], a[66:67], v[56:57], v[132:135]// 0000000086E8: D3E10084 0E127142
	buffer_load_dword v11, s[24:27], 0 idxen lds               // 0000000086F0: E0512000 8006000B
	v_mfma_f32_16x16x16_bf16 v[132:135], a[70:71], v[58:59], v[132:135]// 0000000086F8: D3E10084 0E127546
	s_cmp_lt_u32 s60, s58                                      // 000000008700: BF0A3A3C
	s_cselect_b32 s68, s68, 0                                  // 000000008704: 85448044
	s_cselect_b32 s69, s69, 0                                  // 000000008708: 85458045
	v_mfma_f32_16x16x16_bf16 v[132:135], a[74:75], v[60:61], v[132:135]// 00000000870C: D3E10084 0E12794A
	s_add_u32 s8, s68, s8                                      // 000000008714: 80080844
	s_addc_u32 s9, 0, s9                                       // 000000008718: 82090980
	v_mfma_f32_16x16x16_bf16 v[132:135], a[78:79], v[62:63], v[132:135]// 00000000871C: D3E10084 0E127D4E
	s_add_u32 s20, s68, s20                                    // 000000008724: 80141444
	s_addc_u32 s21, 0, s21                                     // 000000008728: 82151580
	v_mfma_f32_16x16x16_bf16 v[132:135], a[82:83], v[64:65], v[132:135]// 00000000872C: D3E10084 0E128152
	s_mov_b32 m0, s76                                          // 000000008734: BEFC004C
	v_add_u32_e32 v11, s69, v11                                // 000000008738: 68161645
	v_mfma_f32_16x16x16_bf16 v[132:135], a[86:87], v[66:67], v[132:135]// 00000000873C: D3E10084 0E128556
	s_cmp_ge_u32 s59, 16                                       // 000000008744: BF09903B
	s_cselect_b32 s66, s67, s66                                // 000000008748: 85424243
	v_mfma_f32_16x16x16_bf16 v[132:135], a[90:91], v[68:69], v[132:135]// 00000000874C: D3E10084 0E12895A
	s_addk_i32 s59, 0x10                                       // 000000008754: B73B0010
	s_nop 0                                                    // 000000008758: BF800000
	s_cmp_lt_i32 s59, s58                                      // 00000000875C: BF043A3B
	v_mfma_f32_16x16x16_bf16 v[132:135], a[94:95], v[70:71], v[132:135]// 000000008760: D3E10084 0E128D5E
	s_cbranch_scc0 label_0F37                                  // 000000008768: BF84FCDC
	s_waitcnt lgkmcnt(4)                                       // 00000000876C: BF8CC47F
	s_barrier                                                  // 000000008770: BF8A0000
	v_mfma_f32_16x16x16_bf16 v[48:51], a[144:145], a[0:1], 0   // 000000008774: D3E10030 1A020190
	v_mul_f32_e32 v128, s48, v128                              // 00000000877C: 0B010030
	v_mul_f32_e32 v129, s48, v129                              // 000000008780: 0B030230
	v_mfma_f32_16x16x16_bf16 v[48:51], a[146:147], a[2:3], v[48:51]// 000000008784: D3E10030 1CC20592
	ds_write_b32 v13, v40 offset:8704                          // 00000000878C: D81A2200 0000280D
	ds_write_b32 v13, v41 offset:9760                          // 000000008794: D81A2620 0000290D
	v_mfma_f32_16x16x16_bf16 v[48:51], a[148:149], a[4:5], v[48:51]// 00000000879C: D3E10030 1CC20994
	v_mul_f32_e32 v130, s48, v130                              // 0000000087A4: 0B050430
	v_mul_f32_e32 v131, s48, v131                              // 0000000087A8: 0B070630
	v_mfma_f32_16x16x16_bf16 v[48:51], a[150:151], a[6:7], v[48:51]// 0000000087AC: D3E10030 1CC20D96
	ds_write_b32 v13, v42 offset:8832                          // 0000000087B4: D81A2280 00002A0D
	ds_write_b32 v13, v43 offset:9888                          // 0000000087BC: D81A26A0 00002B0D
	v_mfma_f32_16x16x16_bf16 v[48:51], a[152:153], a[8:9], v[48:51]// 0000000087C4: D3E10030 1CC21198
	v_mul_f32_e32 v132, s48, v132                              // 0000000087CC: 0B090830
	v_mul_f32_e32 v133, s48, v133                              // 0000000087D0: 0B0B0A30
	v_mfma_f32_16x16x16_bf16 v[48:51], a[154:155], a[10:11], v[48:51]// 0000000087D4: D3E10030 1CC2159A
	v_mul_f32_e32 v134, s48, v134                              // 0000000087DC: 0B0D0C30
	v_mul_f32_e32 v135, s48, v135                              // 0000000087E0: 0B0F0E30
	v_mfma_f32_16x16x16_bf16 v[48:51], a[156:157], a[12:13], v[48:51]// 0000000087E4: D3E10030 1CC2199C
	v_cmp_u_f32_e64 s[74:75], v128, v128                       // 0000000087EC: D048004A 00030180
	v_add3_u32 v248, v128, v251, 1                             // 0000000087F4: D1FF00F8 0207F780
	v_cndmask_b32_e64 v28, v248, v250, s[74:75]                // 0000000087FC: D100001C 012BF5F8
	v_cmp_u_f32_e64 s[74:75], v129, v129                       // 000000008804: D048004A 00030381
	v_add3_u32 v248, v129, v251, 1                             // 00000000880C: D1FF00F8 0207F781
	v_cndmask_b32_e64 v29, v248, v250, s[74:75]                // 000000008814: D100001D 012BF5F8
	v_perm_b32 v128, v29, v28, s64                             // 00000000881C: D1ED0080 0102391D
	v_cmp_u_f32_e64 s[74:75], v130, v130                       // 000000008824: D048004A 00030582
	v_add3_u32 v248, v130, v251, 1                             // 00000000882C: D1FF00F8 0207F782
	v_cndmask_b32_e64 v28, v248, v250, s[74:75]                // 000000008834: D100001C 012BF5F8
	v_cmp_u_f32_e64 s[74:75], v131, v131                       // 00000000883C: D048004A 00030783
	v_add3_u32 v248, v131, v251, 1                             // 000000008844: D1FF00F8 0207F783
	v_cndmask_b32_e64 v29, v248, v250, s[74:75]                // 00000000884C: D100001D 012BF5F8
	v_perm_b32 v129, v29, v28, s64                             // 000000008854: D1ED0081 0102391D
	v_mfma_f32_16x16x16_bf16 v[48:51], a[158:159], a[14:15], v[48:51]// 00000000885C: D3E10030 1CC21D9E
	v_cmp_u_f32_e64 s[74:75], v132, v132                       // 000000008864: D048004A 00030984
	v_add3_u32 v248, v132, v251, 1                             // 00000000886C: D1FF00F8 0207F784
	v_cndmask_b32_e64 v28, v248, v250, s[74:75]                // 000000008874: D100001C 012BF5F8
	v_cmp_u_f32_e64 s[74:75], v133, v133                       // 00000000887C: D048004A 00030B85
	v_add3_u32 v248, v133, v251, 1                             // 000000008884: D1FF00F8 0207F785
	v_cndmask_b32_e64 v29, v248, v250, s[74:75]                // 00000000888C: D100001D 012BF5F8
	v_perm_b32 v130, v29, v28, s64                             // 000000008894: D1ED0082 0102391D
	v_cmp_u_f32_e64 s[74:75], v134, v134                       // 00000000889C: D048004A 00030D86
	v_add3_u32 v248, v134, v251, 1                             // 0000000088A4: D1FF00F8 0207F786
	v_cndmask_b32_e64 v28, v248, v250, s[74:75]                // 0000000088AC: D100001C 012BF5F8
	v_cmp_u_f32_e64 s[74:75], v135, v135                       // 0000000088B4: D048004A 00030F87
	v_add3_u32 v248, v135, v251, 1                             // 0000000088BC: D1FF00F8 0207F787
	v_cndmask_b32_e64 v29, v248, v250, s[74:75]                // 0000000088C4: D100001D 012BF5F8
	v_perm_b32 v131, v29, v28, s64                             // 0000000088CC: D1ED0083 0102391D
	v_mfma_f32_16x16x16_bf16 v[52:55], a[144:145], a[16:17], 0 // 0000000088D4: D3E10034 1A022190
	v_mfma_f32_16x16x16_bf16 v[52:55], a[146:147], a[18:19], v[52:55]// 0000000088DC: D3E10034 1CD22592
	ds_write_b64 v22, v[128:129] offset:24320                  // 0000000088E4: D89A5F00 00008016
	v_mfma_f32_16x16x16_bf16 v[52:55], a[148:149], a[20:21], v[52:55]// 0000000088EC: D3E10034 1CD22994
	v_mfma_f32_16x16x16_bf16 v[52:55], a[150:151], a[22:23], v[52:55]// 0000000088F4: D3E10034 1CD22D96
	ds_write_b64 v22, v[130:131] offset:24864                  // 0000000088FC: D89A6120 00008216
	v_mfma_f32_16x16x16_bf16 v[52:55], a[152:153], a[24:25], v[52:55]// 000000008904: D3E10034 1CD23198
	v_mfma_f32_16x16x16_bf16 v[52:55], a[154:155], a[26:27], v[52:55]// 00000000890C: D3E10034 1CD2359A
	ds_read_b128 v[108:111], v14 offset:13056                  // 000000008914: D9FE3300 6C00000E
	ds_write_b32 v13, v32                                      // 00000000891C: D81A0000 0000200D
	v_mfma_f32_16x16x16_bf16 v[52:55], a[156:157], a[28:29], v[52:55]// 000000008924: D3E10034 1CD2399C
	v_mfma_f32_16x16x16_bf16 v[52:55], a[158:159], a[30:31], v[52:55]// 00000000892C: D3E10034 1CD23D9E
	v_mfma_f32_16x16x16_bf16 v[56:59], a[144:145], a[32:33], 0 // 000000008934: D3E10038 1A024190
	ds_read_b128 v[112:115], v14 offset:13568                  // 00000000893C: D9FE3500 7000000E
	ds_write_b32 v13, v33 offset:1056                          // 000000008944: D81A0420 0000210D
	v_mfma_f32_16x16x16_bf16 v[56:59], a[146:147], a[34:35], v[56:59]// 00000000894C: D3E10038 1CE24592
	v_mfma_f32_16x16x16_bf16 v[56:59], a[148:149], a[36:37], v[56:59]// 000000008954: D3E10038 1CE24994
	v_mfma_f32_16x16x16_bf16 v[56:59], a[150:151], a[38:39], v[56:59]// 00000000895C: D3E10038 1CE24D96
	ds_read_b128 v[116:119], v14 offset:15232                  // 000000008964: D9FE3B80 7400000E
	ds_write_b32 v13, v34 offset:128                           // 00000000896C: D81A0080 0000220D
	v_mfma_f32_16x16x16_bf16 v[56:59], a[152:153], a[40:41], v[56:59]// 000000008974: D3E10038 1CE25198
	v_mfma_f32_16x16x16_bf16 v[56:59], a[154:155], a[42:43], v[56:59]// 00000000897C: D3E10038 1CE2559A
	v_mfma_f32_16x16x16_bf16 v[56:59], a[156:157], a[44:45], v[56:59]// 000000008984: D3E10038 1CE2599C
	ds_read_b128 v[120:123], v14 offset:15744                  // 00000000898C: D9FE3D80 7800000E
	ds_write_b32 v13, v35 offset:1184                          // 000000008994: D81A04A0 0000230D
	v_mfma_f32_16x16x16_bf16 v[56:59], a[158:159], a[46:47], v[56:59]// 00000000899C: D3E10038 1CE25D9E
	s_cmp_lt_i32 s73, 3                                        // 0000000089A4: BF048349
	s_cbranch_scc0 label_12FA                                  // 0000000089A8: BF84000F
	s_cmp_eq_i32 s73, 1                                        // 0000000089AC: BF008149
	s_cbranch_scc1 label_12F0                                  // 0000000089B0: BF850003
	s_cmp_eq_i32 s73, 2                                        // 0000000089B4: BF008249
	s_cbranch_scc1 label_12F5                                  // 0000000089B8: BF850006
	s_branch label_12FA                                        // 0000000089BC: BF82000A

00000000000089c0 <label_12F0>:
	v_mov_b32_e32 v52, v151                                    // 0000000089C0: 7E680397
	v_mov_b32_e32 v53, v151                                    // 0000000089C4: 7E6A0397
	v_mov_b32_e32 v54, v151                                    // 0000000089C8: 7E6C0397
	v_mov_b32_e32 v55, v151                                    // 0000000089CC: 7E6E0397
	s_branch label_12F5                                        // 0000000089D0: BF820000

00000000000089d4 <label_12F5>:
	v_mov_b32_e32 v56, v151                                    // 0000000089D4: 7E700397
	v_mov_b32_e32 v57, v151                                    // 0000000089D8: 7E720397
	v_mov_b32_e32 v58, v151                                    // 0000000089DC: 7E740397
	v_mov_b32_e32 v59, v151                                    // 0000000089E0: 7E760397
	s_branch label_12FA                                        // 0000000089E4: BF820000

00000000000089e8 <label_12FA>:
	s_waitcnt lgkmcnt(8)                                       // 0000000089E8: BF8CC87F
	s_barrier                                                  // 0000000089EC: BF8A0000
	v_mfma_f32_16x16x16_bf16 v[72:75], v[92:93], a[96:97], 0   // 0000000089F0: D3E10048 1202C15C
	v_fma_f32 v48, v48, s57, -v124                             // 0000000089F8: D1CB0030 85F07330
	v_fma_f32 v49, v49, s57, -v125                             // 000000008A00: D1CB0031 85F47331
	v_fma_f32 v50, v50, s57, -v126                             // 000000008A08: D1CB0032 85F87332
	v_mfma_f32_16x16x16_bf16 v[72:75], v[94:95], a[98:99], v[72:75]// 000000008A10: D3E10048 1522C55E
	ds_read_b128 a[144:147], v14 offset:4352                   // 000000008A18: DBFE1100 9000000E
	ds_read_b128 a[148:151], v14 offset:4864                   // 000000008A20: DBFE1300 9400000E
	v_mfma_f32_16x16x16_bf16 v[72:75], v[96:97], a[100:101], v[72:75]// 000000008A28: D3E10048 1522C960
	v_fma_f32 v51, v51, s57, -v127                             // 000000008A30: D1CB0033 85FC7333
	v_fma_f32 v52, v52, s57, -v124                             // 000000008A38: D1CB0034 85F07334
	v_fma_f32 v53, v53, s57, -v125                             // 000000008A40: D1CB0035 85F47335
	v_mfma_f32_16x16x16_bf16 v[72:75], v[98:99], a[102:103], v[72:75]// 000000008A48: D3E10048 1522CD62
	v_fma_f32 v54, v54, s57, -v126                             // 000000008A50: D1CB0036 85F87336
	v_fma_f32 v55, v55, s57, -v127                             // 000000008A58: D1CB0037 85FC7337
	v_fma_f32 v56, v56, s57, -v124                             // 000000008A60: D1CB0038 85F07338
	v_mfma_f32_16x16x16_bf16 v[72:75], v[100:101], a[104:105], v[72:75]// 000000008A68: D3E10048 1522D164
	v_fma_f32 v57, v57, s57, -v125                             // 000000008A70: D1CB0039 85F47339
	v_fma_f32 v58, v58, s57, -v126                             // 000000008A78: D1CB003A 85F8733A
	v_fma_f32 v59, v59, s57, -v127                             // 000000008A80: D1CB003B 85FC733B
	v_mfma_f32_16x16x16_bf16 v[72:75], v[102:103], a[106:107], v[72:75]// 000000008A88: D3E10048 1522D566
	ds_read_b128 a[152:155], v14 offset:6528                   // 000000008A90: DBFE1980 9800000E
	ds_read_b128 a[156:159], v14 offset:7040                   // 000000008A98: DBFE1B80 9C00000E
	v_mfma_f32_16x16x16_bf16 v[72:75], v[104:105], a[108:109], v[72:75]// 000000008AA0: D3E10048 1522D968
	v_exp_f32_e32 v48, v48                                     // 000000008AA8: 7E604130
	v_mfma_f32_16x16x16_bf16 v[72:75], v[106:107], a[110:111], v[72:75]// 000000008AAC: D3E10048 1522DD6A
	v_exp_f32_e32 v49, v49                                     // 000000008AB4: 7E624131
	v_mfma_f32_16x16x16_bf16 v[76:79], v[92:93], a[112:113], 0 // 000000008AB8: D3E1004C 1202E15C
	v_exp_f32_e32 v50, v50                                     // 000000008AC0: 7E644132
	v_mfma_f32_16x16x16_bf16 v[76:79], v[94:95], a[114:115], v[76:79]// 000000008AC4: D3E1004C 1532E55E
	ds_read_b32 v136, v21 offset:24320                         // 000000008ACC: D86C5F00 88000015
	ds_read_b32 v137, v21 offset:24336                         // 000000008AD4: D86C5F10 89000015
	v_mfma_f32_16x16x16_bf16 v[76:79], v[96:97], a[116:117], v[76:79]// 000000008ADC: D3E1004C 1532E960
	v_exp_f32_e32 v51, v51                                     // 000000008AE4: 7E664133
	v_mfma_f32_16x16x16_bf16 v[76:79], v[98:99], a[118:119], v[76:79]// 000000008AE8: D3E1004C 1532ED62
	ds_read_b32 v138, v21 offset:26496                         // 000000008AF0: D86C6780 8A000015
	ds_read_b32 v139, v21 offset:26512                         // 000000008AF8: D86C6790 8B000015
	v_mfma_f32_16x16x16_bf16 v[76:79], v[100:101], a[120:121], v[76:79]// 000000008B00: D3E1004C 1532F164
	v_exp_f32_e32 v52, v52                                     // 000000008B08: 7E684134
	v_mfma_f32_16x16x16_bf16 v[76:79], v[102:103], a[122:123], v[76:79]// 000000008B0C: D3E1004C 1532F566
	v_exp_f32_e32 v53, v53                                     // 000000008B14: 7E6A4135
	v_mfma_f32_16x16x16_bf16 v[76:79], v[104:105], a[124:125], v[76:79]// 000000008B18: D3E1004C 1532F968
	v_exp_f32_e32 v54, v54                                     // 000000008B20: 7E6C4136
	v_mfma_f32_16x16x16_bf16 v[76:79], v[106:107], a[126:127], v[76:79]// 000000008B24: D3E1004C 1532FD6A
	v_exp_f32_e32 v55, v55                                     // 000000008B2C: 7E6E4137
	v_mfma_f32_16x16x16_bf16 v[80:83], v[92:93], a[128:129], 0 // 000000008B30: D3E10050 1203015C
	v_exp_f32_e32 v56, v56                                     // 000000008B38: 7E704138
	v_mfma_f32_16x16x16_bf16 v[80:83], v[94:95], a[130:131], v[80:83]// 000000008B3C: D3E10050 1543055E
	v_exp_f32_e32 v57, v57                                     // 000000008B44: 7E724139
	v_mfma_f32_16x16x16_bf16 v[80:83], v[96:97], a[132:133], v[80:83]// 000000008B48: D3E10050 15430960
	v_exp_f32_e32 v58, v58                                     // 000000008B50: 7E74413A
	v_mfma_f32_16x16x16_bf16 v[80:83], v[98:99], a[134:135], v[80:83]// 000000008B54: D3E10050 15430D62
	v_exp_f32_e32 v59, v59                                     // 000000008B5C: 7E76413B
	v_mfma_f32_16x16x16_bf16 v[80:83], v[100:101], a[136:137], v[80:83]// 000000008B60: D3E10050 15431164
	v_cmp_u_f32_e64 s[74:75], v48, v48                         // 000000008B68: D048004A 00026130
	v_add3_u32 v248, v48, v251, 1                              // 000000008B70: D1FF00F8 0207F730
	v_cndmask_b32_e64 v28, v248, v250, s[74:75]                // 000000008B78: D100001C 012BF5F8
	v_cmp_u_f32_e64 s[74:75], v49, v49                         // 000000008B80: D048004A 00026331
	v_add3_u32 v248, v49, v251, 1                              // 000000008B88: D1FF00F8 0207F731
	v_cndmask_b32_e64 v29, v248, v250, s[74:75]                // 000000008B90: D100001D 012BF5F8
	v_perm_b32 v144, v29, v28, s64                             // 000000008B98: D1ED0090 0102391D
	v_cmp_u_f32_e64 s[74:75], v50, v50                         // 000000008BA0: D048004A 00026532
	v_add3_u32 v248, v50, v251, 1                              // 000000008BA8: D1FF00F8 0207F732
	v_cndmask_b32_e64 v28, v248, v250, s[74:75]                // 000000008BB0: D100001C 012BF5F8
	v_cmp_u_f32_e64 s[74:75], v51, v51                         // 000000008BB8: D048004A 00026733
	v_add3_u32 v248, v51, v251, 1                              // 000000008BC0: D1FF00F8 0207F733
	v_cndmask_b32_e64 v29, v248, v250, s[74:75]                // 000000008BC8: D100001D 012BF5F8
	v_perm_b32 v145, v29, v28, s64                             // 000000008BD0: D1ED0091 0102391D
	v_cmp_u_f32_e64 s[74:75], v52, v52                         // 000000008BD8: D048004A 00026934
	v_add3_u32 v248, v52, v251, 1                              // 000000008BE0: D1FF00F8 0207F734
	v_cndmask_b32_e64 v28, v248, v250, s[74:75]                // 000000008BE8: D100001C 012BF5F8
	v_cmp_u_f32_e64 s[74:75], v53, v53                         // 000000008BF0: D048004A 00026B35
	v_add3_u32 v248, v53, v251, 1                              // 000000008BF8: D1FF00F8 0207F735
	v_cndmask_b32_e64 v29, v248, v250, s[74:75]                // 000000008C00: D100001D 012BF5F8
	v_perm_b32 v146, v29, v28, s64                             // 000000008C08: D1ED0092 0102391D
	v_mfma_f32_16x16x16_bf16 v[80:83], v[102:103], a[138:139], v[80:83]// 000000008C10: D3E10050 15431566
	v_cmp_u_f32_e64 s[74:75], v54, v54                         // 000000008C18: D048004A 00026D36
	v_add3_u32 v248, v54, v251, 1                              // 000000008C20: D1FF00F8 0207F736
	v_cndmask_b32_e64 v28, v248, v250, s[74:75]                // 000000008C28: D100001C 012BF5F8
	v_cmp_u_f32_e64 s[74:75], v55, v55                         // 000000008C30: D048004A 00026F37
	v_add3_u32 v248, v55, v251, 1                              // 000000008C38: D1FF00F8 0207F737
	v_cndmask_b32_e64 v29, v248, v250, s[74:75]                // 000000008C40: D100001D 012BF5F8
	v_perm_b32 v147, v29, v28, s64                             // 000000008C48: D1ED0093 0102391D
	v_cmp_u_f32_e64 s[74:75], v56, v56                         // 000000008C50: D048004A 00027138
	v_add3_u32 v248, v56, v251, 1                              // 000000008C58: D1FF00F8 0207F738
	v_cndmask_b32_e64 v28, v248, v250, s[74:75]                // 000000008C60: D100001C 012BF5F8
	v_cmp_u_f32_e64 s[74:75], v57, v57                         // 000000008C68: D048004A 00027339
	v_add3_u32 v248, v57, v251, 1                              // 000000008C70: D1FF00F8 0207F739
	v_cndmask_b32_e64 v29, v248, v250, s[74:75]                // 000000008C78: D100001D 012BF5F8
	v_perm_b32 v148, v29, v28, s64                             // 000000008C80: D1ED0094 0102391D
	v_cmp_u_f32_e64 s[74:75], v58, v58                         // 000000008C88: D048004A 0002753A
	v_add3_u32 v248, v58, v251, 1                              // 000000008C90: D1FF00F8 0207F73A
	v_cndmask_b32_e64 v28, v248, v250, s[74:75]                // 000000008C98: D100001C 012BF5F8
	v_cmp_u_f32_e64 s[74:75], v59, v59                         // 000000008CA0: D048004A 0002773B
	v_add3_u32 v248, v59, v251, 1                              // 000000008CA8: D1FF00F8 0207F73B
	v_cndmask_b32_e64 v29, v248, v250, s[74:75]                // 000000008CB0: D100001D 012BF5F8
	v_perm_b32 v149, v29, v28, s64                             // 000000008CB8: D1ED0095 0102391D
	v_mfma_f32_16x16x16_bf16 v[80:83], v[104:105], a[140:141], v[80:83]// 000000008CC0: D3E10050 15431968
	s_add_u32 s32, s66, s32                                    // 000000008CC8: 80202042
	s_addc_u32 s33, 0, s33                                     // 000000008CCC: 82212180
	v_mfma_f32_16x16x16_bf16 v[80:83], v[106:107], a[142:143], v[80:83]// 000000008CD0: D3E10050 15431D6A
	s_waitcnt lgkmcnt(0)                                       // 000000008CD8: BF8CC07F
	s_barrier                                                  // 000000008CDC: BF8A0000
	v_mfma_f32_16x16x16_bf16 v[152:155], v[108:109], v[144:145], v[152:155]// 000000008CE0: D3E10098 0663216C
	v_subrev_f32_dpp v72, v150, v72 quad_perm:[0,0,0,0] row_mask:0xf bank_mask:0xf// 000000008CE8: 069090FA FF000096
	v_subrev_f32_dpp v73, v150, v73 quad_perm:[1,1,1,1] row_mask:0xf bank_mask:0xf// 000000008CF0: 069292FA FF005596
	v_subrev_f32_dpp v74, v150, v74 quad_perm:[2,2,2,2] row_mask:0xf bank_mask:0xf// 000000008CF8: 069494FA FF00AA96
	v_mfma_f32_16x16x16_bf16 v[156:159], v[110:111], v[144:145], v[156:159]// 000000008D00: D3E1009C 0673216E
	v_subrev_f32_dpp v75, v150, v75 quad_perm:[3,3,3,3] row_mask:0xf bank_mask:0xf// 000000008D08: 069696FA FF00FF96
	v_subrev_f32_dpp v76, v150, v76 quad_perm:[0,0,0,0] row_mask:0xf bank_mask:0xf// 000000008D10: 069898FA FF000096
	v_subrev_f32_dpp v77, v150, v77 quad_perm:[1,1,1,1] row_mask:0xf bank_mask:0xf// 000000008D18: 069A9AFA FF005596
	v_mfma_f32_16x16x16_bf16 v[160:163], v[112:113], v[144:145], v[160:163]// 000000008D20: D3E100A0 06832170
	v_mul_f32_e32 v72, v48, v72                                // 000000008D28: 0A909130
	v_mul_f32_e32 v73, v49, v73                                // 000000008D2C: 0A929331
	v_mul_f32_e32 v74, v50, v74                                // 000000008D30: 0A949532
	v_mfma_f32_16x16x16_bf16 v[164:167], v[114:115], v[144:145], v[164:167]// 000000008D34: D3E100A4 06932172
	v_mul_f32_e32 v75, v51, v75                                // 000000008D3C: 0A969733
	v_mul_f32_e32 v76, v52, v76                                // 000000008D40: 0A989934
	v_mul_f32_e32 v77, v53, v77                                // 000000008D44: 0A9A9B35
	v_mfma_f32_16x16x16_bf16 v[168:171], v[116:117], v[144:145], v[168:171]// 000000008D48: D3E100A8 06A32174
	v_cmp_u_f32_e64 s[74:75], v72, v72                         // 000000008D50: D048004A 00029148
	v_add3_u32 v248, v72, v251, 1                              // 000000008D58: D1FF00F8 0207F748
	v_cndmask_b32_e64 v28, v248, v250, s[74:75]                // 000000008D60: D100001C 012BF5F8
	v_cmp_u_f32_e64 s[74:75], v73, v73                         // 000000008D68: D048004A 00029349
	v_add3_u32 v248, v73, v251, 1                              // 000000008D70: D1FF00F8 0207F749
	v_cndmask_b32_e64 v29, v248, v250, s[74:75]                // 000000008D78: D100001D 012BF5F8
	v_perm_b32 v72, v29, v28, s64                              // 000000008D80: D1ED0048 0102391D
	v_cmp_u_f32_e64 s[74:75], v74, v74                         // 000000008D88: D048004A 0002954A
	v_add3_u32 v248, v74, v251, 1                              // 000000008D90: D1FF00F8 0207F74A
	v_cndmask_b32_e64 v28, v248, v250, s[74:75]                // 000000008D98: D100001C 012BF5F8
	v_cmp_u_f32_e64 s[74:75], v75, v75                         // 000000008DA0: D048004A 0002974B
	v_add3_u32 v248, v75, v251, 1                              // 000000008DA8: D1FF00F8 0207F74B
	v_cndmask_b32_e64 v29, v248, v250, s[74:75]                // 000000008DB0: D100001D 012BF5F8
	v_perm_b32 v73, v29, v28, s64                              // 000000008DB8: D1ED0049 0102391D
	v_cmp_u_f32_e64 s[74:75], v76, v76                         // 000000008DC0: D048004A 0002994C
	v_add3_u32 v248, v76, v251, 1                              // 000000008DC8: D1FF00F8 0207F74C
	v_cndmask_b32_e64 v28, v248, v250, s[74:75]                // 000000008DD0: D100001C 012BF5F8
	v_cmp_u_f32_e64 s[74:75], v77, v77                         // 000000008DD8: D048004A 00029B4D
	v_add3_u32 v248, v77, v251, 1                              // 000000008DE0: D1FF00F8 0207F74D
	v_cndmask_b32_e64 v29, v248, v250, s[74:75]                // 000000008DE8: D100001D 012BF5F8
	v_perm_b32 v74, v29, v28, s64                              // 000000008DF0: D1ED004A 0102391D
	v_mfma_f32_16x16x16_bf16 v[172:175], v[118:119], v[144:145], v[172:175]// 000000008DF8: D3E100AC 06B32176
	v_mov_b32_dpp v18, v72 quad_perm:[1,0,3,2] row_mask:0xf bank_mask:0xf// 000000008E00: 7E2402FA FF00B148
	v_perm_b32 v48, v18, v72, v17                              // 000000008E08: D1ED0030 04469112
	v_mov_b32_dpp v18, v73 quad_perm:[1,0,3,2] row_mask:0xf bank_mask:0xf// 000000008E10: 7E2402FA FF00B149
	v_mfma_f32_16x16x16_bf16 v[176:179], v[120:121], v[144:145], v[176:179]// 000000008E18: D3E100B0 06C32178
	ds_write_b32 v20, v48 offset:17408                         // 000000008E20: D81A4400 00003014
	v_mfma_f32_16x16x16_bf16 v[180:183], v[122:123], v[144:145], v[180:183]// 000000008E28: D3E100B4 06D3217A
	v_perm_b32 v49, v18, v73, v17                              // 000000008E30: D1ED0031 04469312
	v_mov_b32_dpp v18, v74 quad_perm:[1,0,3,2] row_mask:0xf bank_mask:0xf// 000000008E38: 7E2402FA FF00B14A
	v_perm_b32 v50, v18, v74, v17                              // 000000008E40: D1ED0032 04469512
	v_mfma_f32_16x16x16_bf16 v[184:187], v[108:109], v[146:147], v[184:187]// 000000008E48: D3E100B8 06E3256C
	ds_write_b32 v20, v49 offset:17952                         // 000000008E50: D81A4620 00003114
	v_mfma_f32_16x16x16_bf16 v[188:191], v[110:111], v[146:147], v[188:191]// 000000008E58: D3E100BC 06F3256E
	v_subrev_f32_dpp v78, v150, v78 quad_perm:[2,2,2,2] row_mask:0xf bank_mask:0xf// 000000008E60: 069C9CFA FF00AA96
	v_subrev_f32_dpp v79, v150, v79 quad_perm:[3,3,3,3] row_mask:0xf bank_mask:0xf// 000000008E68: 069E9EFA FF00FF96
	v_subrev_f32_dpp v80, v150, v80 quad_perm:[0,0,0,0] row_mask:0xf bank_mask:0xf// 000000008E70: 06A0A0FA FF000096
	v_mfma_f32_16x16x16_bf16 v[192:195], v[112:113], v[146:147], v[192:195]// 000000008E78: D3E100C0 07032570
	ds_write_b32 v20, v50 offset:19712                         // 000000008E80: D81A4D00 00003214
	v_mfma_f32_16x16x16_bf16 v[196:199], v[114:115], v[146:147], v[196:199]// 000000008E88: D3E100C4 07132572
	v_subrev_f32_dpp v81, v150, v81 quad_perm:[1,1,1,1] row_mask:0xf bank_mask:0xf// 000000008E90: 06A2A2FA FF005596
	v_subrev_f32_dpp v82, v150, v82 quad_perm:[2,2,2,2] row_mask:0xf bank_mask:0xf// 000000008E98: 06A4A4FA FF00AA96
	v_subrev_f32_dpp v83, v150, v83 quad_perm:[3,3,3,3] row_mask:0xf bank_mask:0xf// 000000008EA0: 06A6A6FA FF00FF96
	v_mfma_f32_16x16x16_bf16 v[200:203], v[116:117], v[146:147], v[200:203]// 000000008EA8: D3E100C8 07232574
	v_mul_f32_e32 v78, v54, v78                                // 000000008EB0: 0A9C9D36
	v_mul_f32_e32 v79, v55, v79                                // 000000008EB4: 0A9E9F37
	v_mul_f32_e32 v80, v56, v80                                // 000000008EB8: 0AA0A138
	v_mfma_f32_16x16x16_bf16 v[204:207], v[118:119], v[146:147], v[204:207]// 000000008EBC: D3E100CC 07332576
	v_mul_f32_e32 v81, v57, v81                                // 000000008EC4: 0AA2A339
	v_mul_f32_e32 v82, v58, v82                                // 000000008EC8: 0AA4A53A
	v_mul_f32_e32 v83, v59, v83                                // 000000008ECC: 0AA6A73B
	v_mfma_f32_16x16x16_bf16 v[208:211], v[120:121], v[146:147], v[208:211]// 000000008ED0: D3E100D0 07432578
	v_cmp_u_f32_e64 s[74:75], v78, v78                         // 000000008ED8: D048004A 00029D4E
	v_add3_u32 v248, v78, v251, 1                              // 000000008EE0: D1FF00F8 0207F74E
	v_cndmask_b32_e64 v28, v248, v250, s[74:75]                // 000000008EE8: D100001C 012BF5F8
	v_cmp_u_f32_e64 s[74:75], v79, v79                         // 000000008EF0: D048004A 00029F4F
	v_add3_u32 v248, v79, v251, 1                              // 000000008EF8: D1FF00F8 0207F74F
	v_cndmask_b32_e64 v29, v248, v250, s[74:75]                // 000000008F00: D100001D 012BF5F8
	v_perm_b32 v75, v29, v28, s64                              // 000000008F08: D1ED004B 0102391D
	v_cmp_u_f32_e64 s[74:75], v80, v80                         // 000000008F10: D048004A 0002A150
	v_add3_u32 v248, v80, v251, 1                              // 000000008F18: D1FF00F8 0207F750
	v_cndmask_b32_e64 v28, v248, v250, s[74:75]                // 000000008F20: D100001C 012BF5F8
	v_cmp_u_f32_e64 s[74:75], v81, v81                         // 000000008F28: D048004A 0002A351
	v_add3_u32 v248, v81, v251, 1                              // 000000008F30: D1FF00F8 0207F751
	v_cndmask_b32_e64 v29, v248, v250, s[74:75]                // 000000008F38: D100001D 012BF5F8
	v_perm_b32 v76, v29, v28, s64                              // 000000008F40: D1ED004C 0102391D
	v_cmp_u_f32_e64 s[74:75], v82, v82                         // 000000008F48: D048004A 0002A552
	v_add3_u32 v248, v82, v251, 1                              // 000000008F50: D1FF00F8 0207F752
	v_cndmask_b32_e64 v28, v248, v250, s[74:75]                // 000000008F58: D100001C 012BF5F8
	v_cmp_u_f32_e64 s[74:75], v83, v83                         // 000000008F60: D048004A 0002A753
	v_add3_u32 v248, v83, v251, 1                              // 000000008F68: D1FF00F8 0207F753
	v_cndmask_b32_e64 v29, v248, v250, s[74:75]                // 000000008F70: D100001D 012BF5F8
	v_perm_b32 v77, v29, v28, s64                              // 000000008F78: D1ED004D 0102391D
	v_mfma_f32_16x16x16_bf16 v[212:215], v[122:123], v[146:147], v[212:215]// 000000008F80: D3E100D4 0753257A
	v_mov_b32_dpp v18, v75 quad_perm:[1,0,3,2] row_mask:0xf bank_mask:0xf// 000000008F88: 7E2402FA FF00B14B
	v_perm_b32 v51, v18, v75, v17                              // 000000008F90: D1ED0033 04469712
	v_mov_b32_dpp v18, v76 quad_perm:[1,0,3,2] row_mask:0xf bank_mask:0xf// 000000008F98: 7E2402FA FF00B14C
	v_mfma_f32_16x16x16_bf16 v[216:219], v[108:109], v[148:149], v[216:219]// 000000008FA0: D3E100D8 0763296C
	ds_write_b32 v20, v51 offset:20256                         // 000000008FA8: D81A4F20 00003314
	v_mfma_f32_16x16x16_bf16 v[220:223], v[110:111], v[148:149], v[220:223]// 000000008FB0: D3E100DC 0773296E
	v_perm_b32 v52, v18, v76, v17                              // 000000008FB8: D1ED0034 04469912
	v_mov_b32_dpp v18, v77 quad_perm:[1,0,3,2] row_mask:0xf bank_mask:0xf// 000000008FC0: 7E2402FA FF00B14D
	v_perm_b32 v53, v18, v77, v17                              // 000000008FC8: D1ED0035 04469B12
	v_mfma_f32_16x16x16_bf16 v[224:227], v[112:113], v[148:149], v[224:227]// 000000008FD0: D3E100E0 07832970
	ds_write_b32 v20, v52 offset:22016                         // 000000008FD8: D81A5600 00003414
	ds_write_b32 v20, v53 offset:22560                         // 000000008FE0: D81A5820 00003514
	v_mfma_f32_16x16x16_bf16 v[228:231], v[114:115], v[148:149], v[228:231]// 000000008FE8: D3E100E4 07932972
	v_mfma_f32_16x16x16_bf16 v[232:235], v[116:117], v[148:149], v[232:235]// 000000008FF0: D3E100E8 07A32974
	ds_write_b32 v15, v84 offset:4352                          // 000000008FF8: D81A1100 0000540F
	ds_write_b32 v15, v85 offset:5408                          // 000000009000: D81A1520 0000550F
	v_mfma_f32_16x16x16_bf16 v[236:239], v[118:119], v[148:149], v[236:239]// 000000009008: D3E100EC 07B32976
	v_mfma_f32_16x16x16_bf16 v[240:243], v[120:121], v[148:149], v[240:243]// 000000009010: D3E100F0 07C32978
	ds_write_b32 v15, v86 offset:4480                          // 000000009018: D81A1180 0000560F
	ds_write_b32 v15, v87 offset:5536                          // 000000009020: D81A15A0 0000570F
	v_mfma_f32_16x16x16_bf16 v[244:247], v[122:123], v[148:149], v[244:247]// 000000009028: D3E100F4 07D3297A
	s_nop 0                                                    // 000000009030: BF800000
	s_nop 0                                                    // 000000009034: BF800000
	;; [unrolled: 1-line block ×3, first 2 shown]
	s_barrier                                                  // 00000000903C: BF8A0000
	v_mfma_f32_16x16x16_bf16 a[160:163], a[144:145], v[72:73], a[160:163]// 000000009040: D3E180A0 0E829190
	ds_read_b32 v124, v23 offset:50688                         // 000000009048: D86CC600 7C000017
	ds_read_b32 v150, v23 offset:50944                         // 000000009050: D86CC700 96000017
	v_mfma_f32_16x16x16_bf16 a[164:167], a[146:147], v[72:73], a[164:167]// 000000009058: D3E180A4 0E929192
	global_atomic_pk_add_bf16 v6, v136, s[32:33]               // 000000009060: DD488000 00208806
	v_mfma_f32_16x16x16_bf16 a[168:171], a[148:149], v[72:73], a[168:171]// 000000009068: D3E180A8 0EA29194
	s_waitcnt lgkmcnt(6)                                       // 000000009070: BF8CC67F
	s_barrier                                                  // 000000009074: BF8A0000
	v_mfma_f32_16x16x16_bf16 a[172:175], a[150:151], v[72:73], a[172:175]// 000000009078: D3E180AC 0EB29196
	v_mfma_f32_16x16x16_bf16 a[176:179], a[152:153], v[72:73], a[176:179]// 000000009080: D3E180B0 0EC29198
	ds_read_b128 v[48:51], v19 offset:17408                    // 000000009088: D9FE4400 30000013
	v_mfma_f32_16x16x16_bf16 a[180:183], a[154:155], v[72:73], a[180:183]// 000000009090: D3E180B4 0ED2919A
	v_mfma_f32_16x16x16_bf16 a[184:187], a[156:157], v[72:73], a[184:187]// 000000009098: D3E180B8 0EE2919C
	ds_read_b128 v[52:55], v19 offset:18560                    // 0000000090A0: D9FE4880 34000013
	v_mfma_f32_16x16x16_bf16 a[188:191], a[158:159], v[72:73], a[188:191]// 0000000090A8: D3E180BC 0EF2919E
	global_atomic_pk_add_bf16 v8, v137, s[32:33]               // 0000000090B0: DD488000 00208908
	v_mfma_f32_16x16x16_bf16 a[192:195], a[144:145], v[74:75], a[192:195]// 0000000090B8: D3E180C0 0F029590
	ds_read_b128 v[56:59], v19 offset:19712                    // 0000000090C0: D9FE4D00 38000013
	v_mfma_f32_16x16x16_bf16 a[196:199], a[146:147], v[74:75], a[196:199]// 0000000090C8: D3E180C4 0F129592
	v_mfma_f32_16x16x16_bf16 a[200:203], a[148:149], v[74:75], a[200:203]// 0000000090D0: D3E180C8 0F229594
	ds_read_b128 v[60:63], v19 offset:20864                    // 0000000090D8: D9FE5180 3C000013
	v_mfma_f32_16x16x16_bf16 a[204:207], a[150:151], v[74:75], a[204:207]// 0000000090E0: D3E180CC 0F329596
	v_mfma_f32_16x16x16_bf16 a[208:211], a[152:153], v[74:75], a[208:211]// 0000000090E8: D3E180D0 0F429598
	ds_read_b128 v[64:67], v19 offset:22016                    // 0000000090F0: D9FE5600 40000013
	v_mfma_f32_16x16x16_bf16 a[212:215], a[154:155], v[74:75], a[212:215]// 0000000090F8: D3E180D4 0F52959A
	s_mov_b64 exec, s[92:93]                                   // 000000009100: BEFE015C
	global_atomic_pk_add_bf16 v6, v138, s[32:33] offset:128    // 000000009104: DD488080 00208A06
	s_mov_b64 exec, s[86:87]                                   // 00000000910C: BEFE0156
	v_mfma_f32_16x16x16_bf16 a[216:219], a[156:157], v[74:75], a[216:219]// 000000009110: D3E180D8 0F62959C
	ds_read_b128 v[68:71], v19 offset:23168                    // 000000009118: D9FE5A80 44000013
	v_mfma_f32_16x16x16_bf16 a[220:223], a[158:159], v[74:75], a[220:223]// 000000009120: D3E180DC 0F72959E
	v_mfma_f32_16x16x16_bf16 a[224:227], a[144:145], v[76:77], a[224:227]// 000000009128: D3E180E0 0F829990
	ds_write_b32 v15, v88 offset:13056                         // 000000009130: D81A3300 0000580F
	v_mfma_f32_16x16x16_bf16 a[228:231], a[146:147], v[76:77], a[228:231]// 000000009138: D3E180E4 0F929992
	v_mfma_f32_16x16x16_bf16 a[232:235], a[148:149], v[76:77], a[232:235]// 000000009140: D3E180E8 0FA29994
	ds_write_b32 v15, v89 offset:14112                         // 000000009148: D81A3720 0000590F
	v_mfma_f32_16x16x16_bf16 a[236:239], a[150:151], v[76:77], a[236:239]// 000000009150: D3E180EC 0FB29996
	s_mov_b64 exec, s[92:93]                                   // 000000009158: BEFE015C
	global_atomic_pk_add_bf16 v8, v139, s[32:33] offset:128    // 00000000915C: DD488080 00208B08
	s_mov_b64 exec, s[86:87]                                   // 000000009164: BEFE0156
	v_mfma_f32_16x16x16_bf16 a[240:243], a[152:153], v[76:77], a[240:243]// 000000009168: D3E180F0 0FC29998
	ds_write_b32 v15, v90 offset:13184                         // 000000009170: D81A3380 00005A0F
	v_mfma_f32_16x16x16_bf16 a[244:247], a[154:155], v[76:77], a[244:247]// 000000009178: D3E180F4 0FD2999A
	v_mfma_f32_16x16x16_bf16 a[248:251], a[156:157], v[76:77], a[248:251]// 000000009180: D3E180F8 0FE2999C
	ds_write_b32 v15, v91 offset:14240                         // 000000009188: D81A37A0 00005B0F
	v_mfma_f32_16x16x16_bf16 a[252:255], a[158:159], v[76:77], a[252:255]// 000000009190: D3E180FC 0FF2999E
	s_waitcnt vmcnt(4) lgkmcnt(4)                              // 000000009198: BF8C0474
	s_barrier                                                  // 00000000919C: BF8A0000
	v_mfma_f32_16x16x16_bf16 v[128:131], a[48:49], v[48:49], 0 // 0000000091A0: D3E10080 0A026130
	ds_read_b128 a[144:147], v12                               // 0000000091A8: DBFE0000 9000000C
	v_mov_b32_e32 v32, 0                                       // 0000000091B0: 7E400280
	s_mov_b64 exec, s[88:89]                                   // 0000000091B4: BEFE0158
	buffer_load_dword v32, v1, s[8:11], 0 idxen                // 0000000091B8: E0502000 80022001
	s_mov_b64 exec, s[86:87]                                   // 0000000091C0: BEFE0156
	v_mfma_f32_16x16x16_bf16 v[128:131], a[52:53], v[50:51], v[128:131]// 0000000091C4: D3E10080 0E026534
	v_mul_f32_e32 v124, s49, v124                              // 0000000091CC: 0AF8F831
	s_nop 0                                                    // 0000000091D0: BF800000
	v_mfma_f32_16x16x16_bf16 v[128:131], a[56:57], v[52:53], v[128:131]// 0000000091D4: D3E10080 0E026938
	ds_read_b128 a[148:151], v12 offset:512                    // 0000000091DC: DBFE0200 9400000C
	v_mov_b32_e32 v33, 0                                       // 0000000091E4: 7E420280
	s_mov_b64 exec, s[88:89]                                   // 0000000091E8: BEFE0158
	buffer_load_dword v33, v2, s[8:11], 0 idxen                // 0000000091EC: E0502000 80022102
	s_mov_b64 exec, s[86:87]                                   // 0000000091F4: BEFE0156
	v_mfma_f32_16x16x16_bf16 v[128:131], a[60:61], v[54:55], v[128:131]// 0000000091F8: D3E10080 0E026D3C
	v_mfma_f32_16x16x16_bf16 v[128:131], a[64:65], v[56:57], v[128:131]// 000000009200: D3E10080 0E027140
	ds_read_b128 a[152:155], v12 offset:2176                   // 000000009208: DBFE0880 9800000C
	v_mov_b32_e32 v34, 0                                       // 000000009210: 7E440280
	s_mov_b64 exec, s[88:89]                                   // 000000009214: BEFE0158
	buffer_load_dword v34, v3, s[8:11], 0 idxen                // 000000009218: E0502000 80022203
	s_mov_b64 exec, s[86:87]                                   // 000000009220: BEFE0156
	v_mfma_f32_16x16x16_bf16 v[128:131], a[68:69], v[58:59], v[128:131]// 000000009224: D3E10080 0E027544
	v_perm_b32 v84, v37, v36, s63                              // 00000000922C: D1ED0054 00FE4925
	v_perm_b32 v85, v37, v36, s64                              // 000000009234: D1ED0055 01024925
	v_mfma_f32_16x16x16_bf16 v[128:131], a[72:73], v[60:61], v[128:131]// 00000000923C: D3E10080 0E027948
	ds_read_b128 a[156:159], v12 offset:2688                   // 000000009244: DBFE0A80 9C00000C
	v_mov_b32_e32 v35, 0                                       // 00000000924C: 7E460280
	s_mov_b64 exec, s[88:89]                                   // 000000009250: BEFE0158
	buffer_load_dword v35, v4, s[8:11], 0 idxen                // 000000009254: E0502000 80022304
	s_mov_b64 exec, s[86:87]                                   // 00000000925C: BEFE0156
	v_mfma_f32_16x16x16_bf16 v[128:131], a[76:77], v[62:63], v[128:131]// 000000009260: D3E10080 0E027D4C
	v_perm_b32 v86, v39, v38, s63                              // 000000009268: D1ED0056 00FE4D27
	v_perm_b32 v87, v39, v38, s64                              // 000000009270: D1ED0057 01024D27
	v_mfma_f32_16x16x16_bf16 v[128:131], a[80:81], v[64:65], v[128:131]// 000000009278: D3E10080 0E028150
	ds_read_b128 v[92:95], v12 offset:8704                     // 000000009280: D9FE2200 5C00000C
	v_mov_b32_e32 v40, 0                                       // 000000009288: 7E500280
	s_mov_b64 exec, s[88:89]                                   // 00000000928C: BEFE0158
	buffer_load_dword v40, v1, s[20:23], 0 idxen               // 000000009290: E0502000 80052801
	s_mov_b64 exec, s[86:87]                                   // 000000009298: BEFE0156
	v_mfma_f32_16x16x16_bf16 v[128:131], a[84:85], v[66:67], v[128:131]// 00000000929C: D3E10080 0E028554
	v_perm_b32 v88, v45, v44, s63                              // 0000000092A4: D1ED0058 00FE592D
	v_perm_b32 v89, v45, v44, s64                              // 0000000092AC: D1ED0059 0102592D
	v_mfma_f32_16x16x16_bf16 v[128:131], a[88:89], v[68:69], v[128:131]// 0000000092B4: D3E10080 0E028958
	ds_read_b128 v[96:99], v12 offset:9216                     // 0000000092BC: D9FE2400 6000000C
	v_mov_b32_e32 v41, 0                                       // 0000000092C4: 7E520280
	s_mov_b64 exec, s[88:89]                                   // 0000000092C8: BEFE0158
	buffer_load_dword v41, v2, s[20:23], 0 idxen               // 0000000092CC: E0502000 80052902
	s_mov_b64 exec, s[86:87]                                   // 0000000092D4: BEFE0156
	v_mfma_f32_16x16x16_bf16 v[128:131], a[92:93], v[70:71], v[128:131]// 0000000092D8: D3E10080 0E028D5C
	v_perm_b32 v90, v47, v46, s63                              // 0000000092E0: D1ED005A 00FE5D2F
	v_perm_b32 v91, v47, v46, s64                              // 0000000092E8: D1ED005B 01025D2F
	v_mfma_f32_16x16x16_bf16 v[132:135], a[50:51], v[48:49], 0 // 0000000092F0: D3E10084 0A026132
	ds_read_b128 v[100:103], v12 offset:10880                  // 0000000092F8: D9FE2A80 6400000C
	v_mov_b32_e32 v42, 0                                       // 000000009300: 7E540280
	s_mov_b64 exec, s[88:89]                                   // 000000009304: BEFE0158
	buffer_load_dword v42, v3, s[20:23], 0 idxen               // 000000009308: E0502000 80052A03
	s_mov_b64 exec, s[86:87]                                   // 000000009310: BEFE0156
	v_mfma_f32_16x16x16_bf16 v[132:135], a[54:55], v[50:51], v[132:135]// 000000009314: D3E10084 0E126536
	v_mov_b32_dpp v127, v124 quad_perm:[3,3,3,3] row_mask:0xf bank_mask:0xf// 00000000931C: 7EFE02FA FF00FF7C
	v_mov_b32_dpp v126, v124 quad_perm:[2,2,2,2] row_mask:0xf bank_mask:0xf// 000000009324: 7EFC02FA FF00AA7C
	v_mfma_f32_16x16x16_bf16 v[132:135], a[58:59], v[52:53], v[132:135]// 00000000932C: D3E10084 0E12693A
	ds_read_b128 v[104:107], v12 offset:11392                  // 000000009334: D9FE2C80 6800000C
	v_mov_b32_e32 v43, 0                                       // 00000000933C: 7E560280
	s_mov_b64 exec, s[88:89]                                   // 000000009340: BEFE0158
	buffer_load_dword v43, v4, s[20:23], 0 idxen               // 000000009344: E0502000 80052B04
	s_mov_b64 exec, s[86:87]                                   // 00000000934C: BEFE0156
	v_mfma_f32_16x16x16_bf16 v[132:135], a[62:63], v[54:55], v[132:135]// 000000009350: D3E10084 0E126D3E
	v_mov_b32_dpp v125, v124 quad_perm:[1,1,1,1] row_mask:0xf bank_mask:0xf// 000000009358: 7EFA02FA FF00557C
	v_mov_b32_dpp v124, v124 quad_perm:[0,0,0,0] row_mask:0xf bank_mask:0xf// 000000009360: 7EF802FA FF00007C
	s_add_u32 s60, 64, s59                                     // 000000009368: 803C3BC0
	v_mfma_f32_16x16x16_bf16 v[132:135], a[66:67], v[56:57], v[132:135]// 00000000936C: D3E10084 0E127142
	buffer_load_dword v11, s[24:27], 0 idxen lds               // 000000009374: E0512000 8006000B
	v_mfma_f32_16x16x16_bf16 v[132:135], a[70:71], v[58:59], v[132:135]// 00000000937C: D3E10084 0E127546
	s_cmp_lt_u32 s60, s58                                      // 000000009384: BF0A3A3C
	s_cselect_b32 s68, s68, 0                                  // 000000009388: 85448044
	s_cselect_b32 s69, s69, 0                                  // 00000000938C: 85458045
	v_mfma_f32_16x16x16_bf16 v[132:135], a[74:75], v[60:61], v[132:135]// 000000009390: D3E10084 0E12794A
	s_add_u32 s8, s68, s8                                      // 000000009398: 80080844
	s_addc_u32 s9, 0, s9                                       // 00000000939C: 82090980
	v_mfma_f32_16x16x16_bf16 v[132:135], a[78:79], v[62:63], v[132:135]// 0000000093A0: D3E10084 0E127D4E
	s_add_u32 s20, s68, s20                                    // 0000000093A8: 80141444
	s_addc_u32 s21, 0, s21                                     // 0000000093AC: 82151580
	v_mfma_f32_16x16x16_bf16 v[132:135], a[82:83], v[64:65], v[132:135]// 0000000093B0: D3E10084 0E128152
	s_mov_b32 m0, s77                                          // 0000000093B8: BEFC004D
	v_add_u32_e32 v11, s69, v11                                // 0000000093BC: 68161645
	v_mfma_f32_16x16x16_bf16 v[132:135], a[86:87], v[66:67], v[132:135]// 0000000093C0: D3E10084 0E128556
	s_cmp_ge_u32 s59, 16                                       // 0000000093C8: BF09903B
	s_cselect_b32 s66, s67, s66                                // 0000000093CC: 85424243
	v_mfma_f32_16x16x16_bf16 v[132:135], a[90:91], v[68:69], v[132:135]// 0000000093D0: D3E10084 0E12895A
	s_addk_i32 s59, 0x10                                       // 0000000093D8: B73B0010
	s_nop 0                                                    // 0000000093DC: BF800000
	s_cmp_lt_i32 s59, s58                                      // 0000000093E0: BF043A3B
	v_mfma_f32_16x16x16_bf16 v[132:135], a[94:95], v[70:71], v[132:135]// 0000000093E4: D3E10084 0E128D5E
	s_cbranch_scc0 label_0F37                                  // 0000000093EC: BF84F9BB
	s_branch label_0F3A                                        // 0000000093F0: BF82F9BD

00000000000093f4 <label_157D>:
	s_add_u32 s32, s66, s32                                    // 0000000093F4: 80202042
	s_addc_u32 s33, 0, s33                                     // 0000000093F8: 82212180
	v_lshrrev_b32_e32 v28, 5, v0                               // 0000000093FC: 20380085
	v_mul_i32_i24_e32 v27, 0x42, v28                           // 000000009400: 0C3638FF 00000042
	v_and_b32_e32 v28, 31, v0                                  // 000000009408: 2638009F
	v_mul_i32_i24_e32 v29, 2, v28                              // 00000000940C: 0C3A3882
	v_add_u32_e32 v27, v29, v27                                // 000000009410: 6836371D
	s_mul_i32 s60, s47, 0x420                                  // 000000009414: 923CFF2F 00000420
	v_add_u32_e32 v27, s60, v27                                // 00000000941C: 6836363C
	v_lshlrev_b32_e32 v27, 2, v27                              // 000000009420: 24363682
	v_mul_f32_e32 v128, s48, v128                              // 000000009424: 0B010030
	v_mul_f32_e32 v129, s48, v129                              // 000000009428: 0B030230
	v_mul_f32_e32 v130, s48, v130                              // 00000000942C: 0B050430
	v_mul_f32_e32 v131, s48, v131                              // 000000009430: 0B070630
	v_mul_f32_e32 v132, s48, v132                              // 000000009434: 0B090830
	v_mul_f32_e32 v133, s48, v133                              // 000000009438: 0B0B0A30
	v_mul_f32_e32 v134, s48, v134                              // 00000000943C: 0B0D0C30
	v_mul_f32_e32 v135, s48, v135                              // 000000009440: 0B0F0E30
	v_cmp_u_f32_e64 s[74:75], v128, v128                       // 000000009444: D048004A 00030180
	v_add3_u32 v248, v128, v251, 1                             // 00000000944C: D1FF00F8 0207F780
	v_cndmask_b32_e64 v28, v248, v250, s[74:75]                // 000000009454: D100001C 012BF5F8
	v_cmp_u_f32_e64 s[74:75], v129, v129                       // 00000000945C: D048004A 00030381
	v_add3_u32 v248, v129, v251, 1                             // 000000009464: D1FF00F8 0207F781
	v_cndmask_b32_e64 v29, v248, v250, s[74:75]                // 00000000946C: D100001D 012BF5F8
	v_perm_b32 v128, v29, v28, s64                             // 000000009474: D1ED0080 0102391D
	v_cmp_u_f32_e64 s[74:75], v130, v130                       // 00000000947C: D048004A 00030582
	v_add3_u32 v248, v130, v251, 1                             // 000000009484: D1FF00F8 0207F782
	v_cndmask_b32_e64 v28, v248, v250, s[74:75]                // 00000000948C: D100001C 012BF5F8
	v_cmp_u_f32_e64 s[74:75], v131, v131                       // 000000009494: D048004A 00030783
	v_add3_u32 v248, v131, v251, 1                             // 00000000949C: D1FF00F8 0207F783
	v_cndmask_b32_e64 v29, v248, v250, s[74:75]                // 0000000094A4: D100001D 012BF5F8
	v_perm_b32 v129, v29, v28, s64                             // 0000000094AC: D1ED0081 0102391D
	v_cmp_u_f32_e64 s[74:75], v132, v132                       // 0000000094B4: D048004A 00030984
	v_add3_u32 v248, v132, v251, 1                             // 0000000094BC: D1FF00F8 0207F784
	v_cndmask_b32_e64 v28, v248, v250, s[74:75]                // 0000000094C4: D100001C 012BF5F8
	v_cmp_u_f32_e64 s[74:75], v133, v133                       // 0000000094CC: D048004A 00030B85
	v_add3_u32 v248, v133, v251, 1                             // 0000000094D4: D1FF00F8 0207F785
	v_cndmask_b32_e64 v29, v248, v250, s[74:75]                // 0000000094DC: D100001D 012BF5F8
	v_perm_b32 v130, v29, v28, s64                             // 0000000094E4: D1ED0082 0102391D
	v_cmp_u_f32_e64 s[74:75], v134, v134                       // 0000000094EC: D048004A 00030D86
	v_add3_u32 v248, v134, v251, 1                             // 0000000094F4: D1FF00F8 0207F786
	v_cndmask_b32_e64 v28, v248, v250, s[74:75]                // 0000000094FC: D100001C 012BF5F8
	v_cmp_u_f32_e64 s[74:75], v135, v135                       // 000000009504: D048004A 00030F87
	v_add3_u32 v248, v135, v251, 1                             // 00000000950C: D1FF00F8 0207F787
	v_cndmask_b32_e64 v29, v248, v250, s[74:75]                // 000000009514: D100001D 012BF5F8
	v_perm_b32 v131, v29, v28, s64                             // 00000000951C: D1ED0083 0102391D
	ds_write_b64 v22, v[128:129] offset:24320                  // 000000009524: D89A5F00 00008016
	ds_write_b64 v22, v[130:131] offset:24864                  // 00000000952C: D89A6120 00008216
	s_waitcnt lgkmcnt(0)                                       // 000000009534: BF8CC07F
	s_barrier                                                  // 000000009538: BF8A0000
	ds_read_b32 v136, v21 offset:24320                         // 00000000953C: D86C5F00 88000015
	ds_read_b32 v137, v21 offset:24336                         // 000000009544: D86C5F10 89000015
	ds_read_b32 v138, v21 offset:26496                         // 00000000954C: D86C6780 8A000015
	ds_read_b32 v139, v21 offset:26512                         // 000000009554: D86C6790 8B000015
	s_waitcnt lgkmcnt(0)                                       // 00000000955C: BF8CC07F
	s_barrier                                                  // 000000009560: BF8A0000
	global_atomic_pk_add_bf16 v6, v136, s[32:33]               // 000000009564: DD488000 00208806
	global_atomic_pk_add_bf16 v8, v137, s[32:33]               // 00000000956C: DD488000 00208908
	s_mov_b64 exec, s[92:93]                                   // 000000009574: BEFE015C
	global_atomic_pk_add_bf16 v6, v138, s[32:33] offset:128    // 000000009578: DD488080 00208A06
	s_mov_b64 exec, s[86:87]                                   // 000000009580: BEFE0156
	s_mov_b64 exec, s[92:93]                                   // 000000009584: BEFE015C
	global_atomic_pk_add_bf16 v8, v139, s[32:33] offset:128    // 000000009588: DD488080 00208B08
	s_mov_b64 exec, s[86:87]                                   // 000000009590: BEFE0156
	v_lshrrev_b32_e32 v28, 4, v0                               // 000000009594: 20380084
	v_mul_i32_i24_e32 v26, 2, v28                              // 000000009598: 0C343882
	v_and_b32_e32 v28, 15, v0                                  // 00000000959C: 2638008F
	v_mul_i32_i24_e32 v29, 0x42, v28                           // 0000000095A0: 0C3A38FF 00000042
	v_add_u32_e32 v26, v29, v26                                // 0000000095A8: 6834351D
	s_mul_i32 s60, s47, 0x420                                  // 0000000095AC: 923CFF2F 00000420
	v_add_u32_e32 v26, s60, v26                                // 0000000095B4: 6834343C
	v_lshlrev_b32_e32 v26, 2, v26                              // 0000000095B8: 24343482
	v_accvgpr_read_b32 v30, a160                               // 0000000095BC: D3D8401E 180001A0
	v_accvgpr_read_b32 v31, a161                               // 0000000095C4: D3D8401F 180001A1
	v_mul_f32_e32 v30, s48, v30                                // 0000000095CC: 0A3C3C30
	v_mul_f32_e32 v31, s48, v31                                // 0000000095D0: 0A3E3E30
	v_cmp_u_f32_e64 s[74:75], v30, v30                         // 0000000095D4: D048004A 00023D1E
	v_bfe_u32 v248, v30, 16, 1                                 // 0000000095DC: D1C800F8 0205211E
	v_add3_u32 v248, v30, v248, v251                           // 0000000095E4: D1FF00F8 07EFF11E
	v_cndmask_b32_e64 v28, v248, v250, s[74:75]                // 0000000095EC: D100001C 012BF5F8
	v_lshrrev_b32_e32 v28, 16, v28                             // 0000000095F4: 20383890
	v_cmp_u_f32_e64 s[74:75], v31, v31                         // 0000000095F8: D048004A 00023F1F
	v_bfe_u32 v248, v31, 16, 1                                 // 000000009600: D1C800F8 0205211F
	v_add3_u32 v248, v31, v248, v251                           // 000000009608: D1FF00F8 07EFF11F
	v_cndmask_b32_e64 v29, v248, v250, s[74:75]                // 000000009610: D100001D 012BF5F8
	v_and_or_b32 v48, v29, v249, v28                           // 000000009618: D2010030 0473F31D
	v_accvgpr_read_b32 v30, a162                               // 000000009620: D3D8401E 180001A2
	v_accvgpr_read_b32 v31, a163                               // 000000009628: D3D8401F 180001A3
	v_mul_f32_e32 v30, s48, v30                                // 000000009630: 0A3C3C30
	v_mul_f32_e32 v31, s48, v31                                // 000000009634: 0A3E3E30
	v_cmp_u_f32_e64 s[74:75], v30, v30                         // 000000009638: D048004A 00023D1E
	v_bfe_u32 v248, v30, 16, 1                                 // 000000009640: D1C800F8 0205211E
	v_add3_u32 v248, v30, v248, v251                           // 000000009648: D1FF00F8 07EFF11E
	v_cndmask_b32_e64 v28, v248, v250, s[74:75]                // 000000009650: D100001C 012BF5F8
	v_lshrrev_b32_e32 v28, 16, v28                             // 000000009658: 20383890
	v_cmp_u_f32_e64 s[74:75], v31, v31                         // 00000000965C: D048004A 00023F1F
	v_bfe_u32 v248, v31, 16, 1                                 // 000000009664: D1C800F8 0205211F
	v_add3_u32 v248, v31, v248, v251                           // 00000000966C: D1FF00F8 07EFF11F
	v_cndmask_b32_e64 v29, v248, v250, s[74:75]                // 000000009674: D100001D 012BF5F8
	v_and_or_b32 v49, v29, v249, v28                           // 00000000967C: D2010031 0473F31D
	v_accvgpr_read_b32 v30, a164                               // 000000009684: D3D8401E 180001A4
	v_accvgpr_read_b32 v31, a165                               // 00000000968C: D3D8401F 180001A5
	v_mul_f32_e32 v30, s48, v30                                // 000000009694: 0A3C3C30
	v_mul_f32_e32 v31, s48, v31                                // 000000009698: 0A3E3E30
	v_cmp_u_f32_e64 s[74:75], v30, v30                         // 00000000969C: D048004A 00023D1E
	v_bfe_u32 v248, v30, 16, 1                                 // 0000000096A4: D1C800F8 0205211E
	v_add3_u32 v248, v30, v248, v251                           // 0000000096AC: D1FF00F8 07EFF11E
	v_cndmask_b32_e64 v28, v248, v250, s[74:75]                // 0000000096B4: D100001C 012BF5F8
	v_lshrrev_b32_e32 v28, 16, v28                             // 0000000096BC: 20383890
	v_cmp_u_f32_e64 s[74:75], v31, v31                         // 0000000096C0: D048004A 00023F1F
	v_bfe_u32 v248, v31, 16, 1                                 // 0000000096C8: D1C800F8 0205211F
	v_add3_u32 v248, v31, v248, v251                           // 0000000096D0: D1FF00F8 07EFF11F
	v_cndmask_b32_e64 v29, v248, v250, s[74:75]                // 0000000096D8: D100001D 012BF5F8
	v_and_or_b32 v50, v29, v249, v28                           // 0000000096E0: D2010032 0473F31D
	v_accvgpr_read_b32 v30, a166                               // 0000000096E8: D3D8401E 180001A6
	v_accvgpr_read_b32 v31, a167                               // 0000000096F0: D3D8401F 180001A7
	v_mul_f32_e32 v30, s48, v30                                // 0000000096F8: 0A3C3C30
	v_mul_f32_e32 v31, s48, v31                                // 0000000096FC: 0A3E3E30
	v_cmp_u_f32_e64 s[74:75], v30, v30                         // 000000009700: D048004A 00023D1E
	v_bfe_u32 v248, v30, 16, 1                                 // 000000009708: D1C800F8 0205211E
	v_add3_u32 v248, v30, v248, v251                           // 000000009710: D1FF00F8 07EFF11E
	v_cndmask_b32_e64 v28, v248, v250, s[74:75]                // 000000009718: D100001C 012BF5F8
	v_lshrrev_b32_e32 v28, 16, v28                             // 000000009720: 20383890
	v_cmp_u_f32_e64 s[74:75], v31, v31                         // 000000009724: D048004A 00023F1F
	v_bfe_u32 v248, v31, 16, 1                                 // 00000000972C: D1C800F8 0205211F
	v_add3_u32 v248, v31, v248, v251                           // 000000009734: D1FF00F8 07EFF11F
	v_cndmask_b32_e64 v29, v248, v250, s[74:75]                // 00000000973C: D100001D 012BF5F8
	v_and_or_b32 v51, v29, v249, v28                           // 000000009744: D2010033 0473F31D
	v_accvgpr_read_b32 v30, a168                               // 00000000974C: D3D8401E 180001A8
	v_accvgpr_read_b32 v31, a169                               // 000000009754: D3D8401F 180001A9
	v_mul_f32_e32 v30, s48, v30                                // 00000000975C: 0A3C3C30
	v_mul_f32_e32 v31, s48, v31                                // 000000009760: 0A3E3E30
	v_cmp_u_f32_e64 s[74:75], v30, v30                         // 000000009764: D048004A 00023D1E
	v_bfe_u32 v248, v30, 16, 1                                 // 00000000976C: D1C800F8 0205211E
	v_add3_u32 v248, v30, v248, v251                           // 000000009774: D1FF00F8 07EFF11E
	v_cndmask_b32_e64 v28, v248, v250, s[74:75]                // 00000000977C: D100001C 012BF5F8
	v_lshrrev_b32_e32 v28, 16, v28                             // 000000009784: 20383890
	v_cmp_u_f32_e64 s[74:75], v31, v31                         // 000000009788: D048004A 00023F1F
	v_bfe_u32 v248, v31, 16, 1                                 // 000000009790: D1C800F8 0205211F
	v_add3_u32 v248, v31, v248, v251                           // 000000009798: D1FF00F8 07EFF11F
	v_cndmask_b32_e64 v29, v248, v250, s[74:75]                // 0000000097A0: D100001D 012BF5F8
	v_and_or_b32 v52, v29, v249, v28                           // 0000000097A8: D2010034 0473F31D
	v_accvgpr_read_b32 v30, a170                               // 0000000097B0: D3D8401E 180001AA
	v_accvgpr_read_b32 v31, a171                               // 0000000097B8: D3D8401F 180001AB
	v_mul_f32_e32 v30, s48, v30                                // 0000000097C0: 0A3C3C30
	v_mul_f32_e32 v31, s48, v31                                // 0000000097C4: 0A3E3E30
	v_cmp_u_f32_e64 s[74:75], v30, v30                         // 0000000097C8: D048004A 00023D1E
	v_bfe_u32 v248, v30, 16, 1                                 // 0000000097D0: D1C800F8 0205211E
	v_add3_u32 v248, v30, v248, v251                           // 0000000097D8: D1FF00F8 07EFF11E
	v_cndmask_b32_e64 v28, v248, v250, s[74:75]                // 0000000097E0: D100001C 012BF5F8
	v_lshrrev_b32_e32 v28, 16, v28                             // 0000000097E8: 20383890
	v_cmp_u_f32_e64 s[74:75], v31, v31                         // 0000000097EC: D048004A 00023F1F
	v_bfe_u32 v248, v31, 16, 1                                 // 0000000097F4: D1C800F8 0205211F
	v_add3_u32 v248, v31, v248, v251                           // 0000000097FC: D1FF00F8 07EFF11F
	v_cndmask_b32_e64 v29, v248, v250, s[74:75]                // 000000009804: D100001D 012BF5F8
	v_and_or_b32 v53, v29, v249, v28                           // 00000000980C: D2010035 0473F31D
	v_accvgpr_read_b32 v30, a172                               // 000000009814: D3D8401E 180001AC
	v_accvgpr_read_b32 v31, a173                               // 00000000981C: D3D8401F 180001AD
	v_mul_f32_e32 v30, s48, v30                                // 000000009824: 0A3C3C30
	v_mul_f32_e32 v31, s48, v31                                // 000000009828: 0A3E3E30
	v_cmp_u_f32_e64 s[74:75], v30, v30                         // 00000000982C: D048004A 00023D1E
	v_bfe_u32 v248, v30, 16, 1                                 // 000000009834: D1C800F8 0205211E
	v_add3_u32 v248, v30, v248, v251                           // 00000000983C: D1FF00F8 07EFF11E
	v_cndmask_b32_e64 v28, v248, v250, s[74:75]                // 000000009844: D100001C 012BF5F8
	v_lshrrev_b32_e32 v28, 16, v28                             // 00000000984C: 20383890
	v_cmp_u_f32_e64 s[74:75], v31, v31                         // 000000009850: D048004A 00023F1F
	v_bfe_u32 v248, v31, 16, 1                                 // 000000009858: D1C800F8 0205211F
	v_add3_u32 v248, v31, v248, v251                           // 000000009860: D1FF00F8 07EFF11F
	v_cndmask_b32_e64 v29, v248, v250, s[74:75]                // 000000009868: D100001D 012BF5F8
	v_and_or_b32 v54, v29, v249, v28                           // 000000009870: D2010036 0473F31D
	v_accvgpr_read_b32 v30, a174                               // 000000009878: D3D8401E 180001AE
	v_accvgpr_read_b32 v31, a175                               // 000000009880: D3D8401F 180001AF
	v_mul_f32_e32 v30, s48, v30                                // 000000009888: 0A3C3C30
	v_mul_f32_e32 v31, s48, v31                                // 00000000988C: 0A3E3E30
	v_cmp_u_f32_e64 s[74:75], v30, v30                         // 000000009890: D048004A 00023D1E
	v_bfe_u32 v248, v30, 16, 1                                 // 000000009898: D1C800F8 0205211E
	v_add3_u32 v248, v30, v248, v251                           // 0000000098A0: D1FF00F8 07EFF11E
	v_cndmask_b32_e64 v28, v248, v250, s[74:75]                // 0000000098A8: D100001C 012BF5F8
	v_lshrrev_b32_e32 v28, 16, v28                             // 0000000098B0: 20383890
	v_cmp_u_f32_e64 s[74:75], v31, v31                         // 0000000098B4: D048004A 00023F1F
	v_bfe_u32 v248, v31, 16, 1                                 // 0000000098BC: D1C800F8 0205211F
	v_add3_u32 v248, v31, v248, v251                           // 0000000098C4: D1FF00F8 07EFF11F
	v_cndmask_b32_e64 v29, v248, v250, s[74:75]                // 0000000098CC: D100001D 012BF5F8
	v_and_or_b32 v55, v29, v249, v28                           // 0000000098D4: D2010037 0473F31D
	v_accvgpr_read_b32 v30, a176                               // 0000000098DC: D3D8401E 180001B0
	v_accvgpr_read_b32 v31, a177                               // 0000000098E4: D3D8401F 180001B1
	v_mul_f32_e32 v30, s48, v30                                // 0000000098EC: 0A3C3C30
	v_mul_f32_e32 v31, s48, v31                                // 0000000098F0: 0A3E3E30
	v_cmp_u_f32_e64 s[74:75], v30, v30                         // 0000000098F4: D048004A 00023D1E
	v_bfe_u32 v248, v30, 16, 1                                 // 0000000098FC: D1C800F8 0205211E
	v_add3_u32 v248, v30, v248, v251                           // 000000009904: D1FF00F8 07EFF11E
	v_cndmask_b32_e64 v28, v248, v250, s[74:75]                // 00000000990C: D100001C 012BF5F8
	v_lshrrev_b32_e32 v28, 16, v28                             // 000000009914: 20383890
	v_cmp_u_f32_e64 s[74:75], v31, v31                         // 000000009918: D048004A 00023F1F
	v_bfe_u32 v248, v31, 16, 1                                 // 000000009920: D1C800F8 0205211F
	v_add3_u32 v248, v31, v248, v251                           // 000000009928: D1FF00F8 07EFF11F
	v_cndmask_b32_e64 v29, v248, v250, s[74:75]                // 000000009930: D100001D 012BF5F8
	v_and_or_b32 v56, v29, v249, v28                           // 000000009938: D2010038 0473F31D
	v_accvgpr_read_b32 v30, a178                               // 000000009940: D3D8401E 180001B2
	v_accvgpr_read_b32 v31, a179                               // 000000009948: D3D8401F 180001B3
	v_mul_f32_e32 v30, s48, v30                                // 000000009950: 0A3C3C30
	v_mul_f32_e32 v31, s48, v31                                // 000000009954: 0A3E3E30
	v_cmp_u_f32_e64 s[74:75], v30, v30                         // 000000009958: D048004A 00023D1E
	v_bfe_u32 v248, v30, 16, 1                                 // 000000009960: D1C800F8 0205211E
	v_add3_u32 v248, v30, v248, v251                           // 000000009968: D1FF00F8 07EFF11E
	v_cndmask_b32_e64 v28, v248, v250, s[74:75]                // 000000009970: D100001C 012BF5F8
	v_lshrrev_b32_e32 v28, 16, v28                             // 000000009978: 20383890
	v_cmp_u_f32_e64 s[74:75], v31, v31                         // 00000000997C: D048004A 00023F1F
	v_bfe_u32 v248, v31, 16, 1                                 // 000000009984: D1C800F8 0205211F
	v_add3_u32 v248, v31, v248, v251                           // 00000000998C: D1FF00F8 07EFF11F
	v_cndmask_b32_e64 v29, v248, v250, s[74:75]                // 000000009994: D100001D 012BF5F8
	v_and_or_b32 v57, v29, v249, v28                           // 00000000999C: D2010039 0473F31D
	v_accvgpr_read_b32 v30, a180                               // 0000000099A4: D3D8401E 180001B4
	v_accvgpr_read_b32 v31, a181                               // 0000000099AC: D3D8401F 180001B5
	v_mul_f32_e32 v30, s48, v30                                // 0000000099B4: 0A3C3C30
	v_mul_f32_e32 v31, s48, v31                                // 0000000099B8: 0A3E3E30
	v_cmp_u_f32_e64 s[74:75], v30, v30                         // 0000000099BC: D048004A 00023D1E
	v_bfe_u32 v248, v30, 16, 1                                 // 0000000099C4: D1C800F8 0205211E
	v_add3_u32 v248, v30, v248, v251                           // 0000000099CC: D1FF00F8 07EFF11E
	v_cndmask_b32_e64 v28, v248, v250, s[74:75]                // 0000000099D4: D100001C 012BF5F8
	v_lshrrev_b32_e32 v28, 16, v28                             // 0000000099DC: 20383890
	v_cmp_u_f32_e64 s[74:75], v31, v31                         // 0000000099E0: D048004A 00023F1F
	v_bfe_u32 v248, v31, 16, 1                                 // 0000000099E8: D1C800F8 0205211F
	v_add3_u32 v248, v31, v248, v251                           // 0000000099F0: D1FF00F8 07EFF11F
	v_cndmask_b32_e64 v29, v248, v250, s[74:75]                // 0000000099F8: D100001D 012BF5F8
	v_and_or_b32 v58, v29, v249, v28                           // 000000009A00: D201003A 0473F31D
	v_accvgpr_read_b32 v30, a182                               // 000000009A08: D3D8401E 180001B6
	v_accvgpr_read_b32 v31, a183                               // 000000009A10: D3D8401F 180001B7
	v_mul_f32_e32 v30, s48, v30                                // 000000009A18: 0A3C3C30
	v_mul_f32_e32 v31, s48, v31                                // 000000009A1C: 0A3E3E30
	v_cmp_u_f32_e64 s[74:75], v30, v30                         // 000000009A20: D048004A 00023D1E
	v_bfe_u32 v248, v30, 16, 1                                 // 000000009A28: D1C800F8 0205211E
	v_add3_u32 v248, v30, v248, v251                           // 000000009A30: D1FF00F8 07EFF11E
	v_cndmask_b32_e64 v28, v248, v250, s[74:75]                // 000000009A38: D100001C 012BF5F8
	v_lshrrev_b32_e32 v28, 16, v28                             // 000000009A40: 20383890
	v_cmp_u_f32_e64 s[74:75], v31, v31                         // 000000009A44: D048004A 00023F1F
	v_bfe_u32 v248, v31, 16, 1                                 // 000000009A4C: D1C800F8 0205211F
	v_add3_u32 v248, v31, v248, v251                           // 000000009A54: D1FF00F8 07EFF11F
	v_cndmask_b32_e64 v29, v248, v250, s[74:75]                // 000000009A5C: D100001D 012BF5F8
	v_and_or_b32 v59, v29, v249, v28                           // 000000009A64: D201003B 0473F31D
	v_accvgpr_read_b32 v30, a184                               // 000000009A6C: D3D8401E 180001B8
	v_accvgpr_read_b32 v31, a185                               // 000000009A74: D3D8401F 180001B9
	v_mul_f32_e32 v30, s48, v30                                // 000000009A7C: 0A3C3C30
	v_mul_f32_e32 v31, s48, v31                                // 000000009A80: 0A3E3E30
	v_cmp_u_f32_e64 s[74:75], v30, v30                         // 000000009A84: D048004A 00023D1E
	v_bfe_u32 v248, v30, 16, 1                                 // 000000009A8C: D1C800F8 0205211E
	v_add3_u32 v248, v30, v248, v251                           // 000000009A94: D1FF00F8 07EFF11E
	v_cndmask_b32_e64 v28, v248, v250, s[74:75]                // 000000009A9C: D100001C 012BF5F8
	v_lshrrev_b32_e32 v28, 16, v28                             // 000000009AA4: 20383890
	v_cmp_u_f32_e64 s[74:75], v31, v31                         // 000000009AA8: D048004A 00023F1F
	v_bfe_u32 v248, v31, 16, 1                                 // 000000009AB0: D1C800F8 0205211F
	v_add3_u32 v248, v31, v248, v251                           // 000000009AB8: D1FF00F8 07EFF11F
	v_cndmask_b32_e64 v29, v248, v250, s[74:75]                // 000000009AC0: D100001D 012BF5F8
	v_and_or_b32 v60, v29, v249, v28                           // 000000009AC8: D201003C 0473F31D
	v_accvgpr_read_b32 v30, a186                               // 000000009AD0: D3D8401E 180001BA
	v_accvgpr_read_b32 v31, a187                               // 000000009AD8: D3D8401F 180001BB
	v_mul_f32_e32 v30, s48, v30                                // 000000009AE0: 0A3C3C30
	v_mul_f32_e32 v31, s48, v31                                // 000000009AE4: 0A3E3E30
	v_cmp_u_f32_e64 s[74:75], v30, v30                         // 000000009AE8: D048004A 00023D1E
	v_bfe_u32 v248, v30, 16, 1                                 // 000000009AF0: D1C800F8 0205211E
	v_add3_u32 v248, v30, v248, v251                           // 000000009AF8: D1FF00F8 07EFF11E
	v_cndmask_b32_e64 v28, v248, v250, s[74:75]                // 000000009B00: D100001C 012BF5F8
	v_lshrrev_b32_e32 v28, 16, v28                             // 000000009B08: 20383890
	v_cmp_u_f32_e64 s[74:75], v31, v31                         // 000000009B0C: D048004A 00023F1F
	v_bfe_u32 v248, v31, 16, 1                                 // 000000009B14: D1C800F8 0205211F
	v_add3_u32 v248, v31, v248, v251                           // 000000009B1C: D1FF00F8 07EFF11F
	v_cndmask_b32_e64 v29, v248, v250, s[74:75]                // 000000009B24: D100001D 012BF5F8
	v_and_or_b32 v61, v29, v249, v28                           // 000000009B2C: D201003D 0473F31D
	v_accvgpr_read_b32 v30, a188                               // 000000009B34: D3D8401E 180001BC
	v_accvgpr_read_b32 v31, a189                               // 000000009B3C: D3D8401F 180001BD
	v_mul_f32_e32 v30, s48, v30                                // 000000009B44: 0A3C3C30
	v_mul_f32_e32 v31, s48, v31                                // 000000009B48: 0A3E3E30
	v_cmp_u_f32_e64 s[74:75], v30, v30                         // 000000009B4C: D048004A 00023D1E
	v_bfe_u32 v248, v30, 16, 1                                 // 000000009B54: D1C800F8 0205211E
	v_add3_u32 v248, v30, v248, v251                           // 000000009B5C: D1FF00F8 07EFF11E
	v_cndmask_b32_e64 v28, v248, v250, s[74:75]                // 000000009B64: D100001C 012BF5F8
	v_lshrrev_b32_e32 v28, 16, v28                             // 000000009B6C: 20383890
	v_cmp_u_f32_e64 s[74:75], v31, v31                         // 000000009B70: D048004A 00023F1F
	v_bfe_u32 v248, v31, 16, 1                                 // 000000009B78: D1C800F8 0205211F
	v_add3_u32 v248, v31, v248, v251                           // 000000009B80: D1FF00F8 07EFF11F
	v_cndmask_b32_e64 v29, v248, v250, s[74:75]                // 000000009B88: D100001D 012BF5F8
	v_and_or_b32 v62, v29, v249, v28                           // 000000009B90: D201003E 0473F31D
	v_accvgpr_read_b32 v30, a190                               // 000000009B98: D3D8401E 180001BE
	v_accvgpr_read_b32 v31, a191                               // 000000009BA0: D3D8401F 180001BF
	v_mul_f32_e32 v30, s48, v30                                // 000000009BA8: 0A3C3C30
	v_mul_f32_e32 v31, s48, v31                                // 000000009BAC: 0A3E3E30
	v_cmp_u_f32_e64 s[74:75], v30, v30                         // 000000009BB0: D048004A 00023D1E
	v_bfe_u32 v248, v30, 16, 1                                 // 000000009BB8: D1C800F8 0205211E
	v_add3_u32 v248, v30, v248, v251                           // 000000009BC0: D1FF00F8 07EFF11E
	v_cndmask_b32_e64 v28, v248, v250, s[74:75]                // 000000009BC8: D100001C 012BF5F8
	v_lshrrev_b32_e32 v28, 16, v28                             // 000000009BD0: 20383890
	v_cmp_u_f32_e64 s[74:75], v31, v31                         // 000000009BD4: D048004A 00023F1F
	v_bfe_u32 v248, v31, 16, 1                                 // 000000009BDC: D1C800F8 0205211F
	v_add3_u32 v248, v31, v248, v251                           // 000000009BE4: D1FF00F8 07EFF11F
	v_cndmask_b32_e64 v29, v248, v250, s[74:75]                // 000000009BEC: D100001D 012BF5F8
	v_and_or_b32 v63, v29, v249, v28                           // 000000009BF4: D201003F 0473F31D
	ds_write_b64 v27, v[48:49]                                 // 000000009BFC: D89A0000 0000301B
	ds_write_b64 v27, v[50:51] offset:528                      // 000000009C04: D89A0210 0000321B
	ds_write_b64 v27, v[52:53] offset:1056                     // 000000009C0C: D89A0420 0000341B
	ds_write_b64 v27, v[54:55] offset:1584                     // 000000009C14: D89A0630 0000361B
	ds_write_b64 v27, v[56:57] offset:2112                     // 000000009C1C: D89A0840 0000381B
	ds_write_b64 v27, v[58:59] offset:2640                     // 000000009C24: D89A0A50 00003A1B
	ds_write_b64 v27, v[60:61] offset:3168                     // 000000009C2C: D89A0C60 00003C1B
	ds_write_b64 v27, v[62:63] offset:3696                     // 000000009C34: D89A0E70 00003E1B
	s_waitcnt lgkmcnt(0)                                       // 000000009C3C: BF8CC07F
	s_barrier                                                  // 000000009C40: BF8A0000
	ds_read_b64 v[48:49], v26                                  // 000000009C44: D8EC0000 3000001A
	ds_read_b64 v[50:51], v26 offset:128                       // 000000009C4C: D8EC0080 3200001A
	ds_read_b64 v[52:53], v26 offset:32                        // 000000009C54: D8EC0020 3400001A
	ds_read_b64 v[54:55], v26 offset:160                       // 000000009C5C: D8EC00A0 3600001A
	ds_read_b64 v[56:57], v26 offset:64                        // 000000009C64: D8EC0040 3800001A
	ds_read_b64 v[58:59], v26 offset:192                       // 000000009C6C: D8EC00C0 3A00001A
	ds_read_b64 v[60:61], v26 offset:96                        // 000000009C74: D8EC0060 3C00001A
	ds_read_b64 v[62:63], v26 offset:224                       // 000000009C7C: D8EC00E0 3E00001A
	s_waitcnt lgkmcnt(0)                                       // 000000009C84: BF8CC07F
	s_mov_b64 exec, s[90:91]                                   // 000000009C88: BEFE015A
	buffer_store_dwordx4 v[48:51], v5, s[36:39], 0 idxen       // 000000009C8C: E07C2000 80093005
	s_mov_b64 exec, s[86:87]                                   // 000000009C94: BEFE0156
	v_add_u32_e32 v5, s46, v5                                  // 000000009C98: 680A0A2E
	s_mov_b64 exec, s[90:91]                                   // 000000009C9C: BEFE015A
	buffer_store_dwordx4 v[52:55], v5, s[36:39], 0 idxen       // 000000009CA0: E07C2000 80093405
	s_mov_b64 exec, s[86:87]                                   // 000000009CA8: BEFE0156
	v_add_u32_e32 v5, s46, v5                                  // 000000009CAC: 680A0A2E
	s_mov_b64 exec, s[90:91]                                   // 000000009CB0: BEFE015A
	buffer_store_dwordx4 v[56:59], v5, s[36:39], 0 idxen       // 000000009CB4: E07C2000 80093805
	s_mov_b64 exec, s[86:87]                                   // 000000009CBC: BEFE0156
	v_add_u32_e32 v5, s46, v5                                  // 000000009CC0: 680A0A2E
	s_mov_b64 exec, s[90:91]                                   // 000000009CC4: BEFE015A
	buffer_store_dwordx4 v[60:63], v5, s[36:39], 0 idxen       // 000000009CC8: E07C2000 80093C05
	s_mov_b64 exec, s[86:87]                                   // 000000009CD0: BEFE0156
	v_add_u32_e32 v5, s46, v5                                  // 000000009CD4: 680A0A2E
	s_mul_i32 s60, 12, s46                                     // 000000009CD8: 923C2E8C
	v_add_u32_e32 v5, s60, v5                                  // 000000009CDC: 680A0A3C
	s_barrier                                                  // 000000009CE0: BF8A0000
	s_cmp_ge_i32 1, s73                                        // 000000009CE4: BF034981
	s_cbranch_scc1 label_1B53                                  // 000000009CE8: BF850398
	v_accvgpr_read_b32 v30, a192                               // 000000009CEC: D3D8401E 180001C0
	v_accvgpr_read_b32 v31, a193                               // 000000009CF4: D3D8401F 180001C1
	v_mul_f32_e32 v30, s48, v30                                // 000000009CFC: 0A3C3C30
	v_mul_f32_e32 v31, s48, v31                                // 000000009D00: 0A3E3E30
	v_cmp_u_f32_e64 s[74:75], v30, v30                         // 000000009D04: D048004A 00023D1E
	v_bfe_u32 v248, v30, 16, 1                                 // 000000009D0C: D1C800F8 0205211E
	v_add3_u32 v248, v30, v248, v251                           // 000000009D14: D1FF00F8 07EFF11E
	v_cndmask_b32_e64 v28, v248, v250, s[74:75]                // 000000009D1C: D100001C 012BF5F8
	v_lshrrev_b32_e32 v28, 16, v28                             // 000000009D24: 20383890
	v_cmp_u_f32_e64 s[74:75], v31, v31                         // 000000009D28: D048004A 00023F1F
	v_bfe_u32 v248, v31, 16, 1                                 // 000000009D30: D1C800F8 0205211F
	v_add3_u32 v248, v31, v248, v251                           // 000000009D38: D1FF00F8 07EFF11F
	v_cndmask_b32_e64 v29, v248, v250, s[74:75]                // 000000009D40: D100001D 012BF5F8
	v_and_or_b32 v64, v29, v249, v28                           // 000000009D48: D2010040 0473F31D
	v_accvgpr_read_b32 v30, a194                               // 000000009D50: D3D8401E 180001C2
	v_accvgpr_read_b32 v31, a195                               // 000000009D58: D3D8401F 180001C3
	v_mul_f32_e32 v30, s48, v30                                // 000000009D60: 0A3C3C30
	v_mul_f32_e32 v31, s48, v31                                // 000000009D64: 0A3E3E30
	v_cmp_u_f32_e64 s[74:75], v30, v30                         // 000000009D68: D048004A 00023D1E
	v_bfe_u32 v248, v30, 16, 1                                 // 000000009D70: D1C800F8 0205211E
	v_add3_u32 v248, v30, v248, v251                           // 000000009D78: D1FF00F8 07EFF11E
	v_cndmask_b32_e64 v28, v248, v250, s[74:75]                // 000000009D80: D100001C 012BF5F8
	v_lshrrev_b32_e32 v28, 16, v28                             // 000000009D88: 20383890
	v_cmp_u_f32_e64 s[74:75], v31, v31                         // 000000009D8C: D048004A 00023F1F
	v_bfe_u32 v248, v31, 16, 1                                 // 000000009D94: D1C800F8 0205211F
	v_add3_u32 v248, v31, v248, v251                           // 000000009D9C: D1FF00F8 07EFF11F
	v_cndmask_b32_e64 v29, v248, v250, s[74:75]                // 000000009DA4: D100001D 012BF5F8
	v_and_or_b32 v65, v29, v249, v28                           // 000000009DAC: D2010041 0473F31D
	v_accvgpr_read_b32 v30, a196                               // 000000009DB4: D3D8401E 180001C4
	v_accvgpr_read_b32 v31, a197                               // 000000009DBC: D3D8401F 180001C5
	v_mul_f32_e32 v30, s48, v30                                // 000000009DC4: 0A3C3C30
	v_mul_f32_e32 v31, s48, v31                                // 000000009DC8: 0A3E3E30
	v_cmp_u_f32_e64 s[74:75], v30, v30                         // 000000009DCC: D048004A 00023D1E
	v_bfe_u32 v248, v30, 16, 1                                 // 000000009DD4: D1C800F8 0205211E
	v_add3_u32 v248, v30, v248, v251                           // 000000009DDC: D1FF00F8 07EFF11E
	v_cndmask_b32_e64 v28, v248, v250, s[74:75]                // 000000009DE4: D100001C 012BF5F8
	v_lshrrev_b32_e32 v28, 16, v28                             // 000000009DEC: 20383890
	v_cmp_u_f32_e64 s[74:75], v31, v31                         // 000000009DF0: D048004A 00023F1F
	v_bfe_u32 v248, v31, 16, 1                                 // 000000009DF8: D1C800F8 0205211F
	v_add3_u32 v248, v31, v248, v251                           // 000000009E00: D1FF00F8 07EFF11F
	v_cndmask_b32_e64 v29, v248, v250, s[74:75]                // 000000009E08: D100001D 012BF5F8
	v_and_or_b32 v66, v29, v249, v28                           // 000000009E10: D2010042 0473F31D
	v_accvgpr_read_b32 v30, a198                               // 000000009E18: D3D8401E 180001C6
	v_accvgpr_read_b32 v31, a199                               // 000000009E20: D3D8401F 180001C7
	v_mul_f32_e32 v30, s48, v30                                // 000000009E28: 0A3C3C30
	v_mul_f32_e32 v31, s48, v31                                // 000000009E2C: 0A3E3E30
	v_cmp_u_f32_e64 s[74:75], v30, v30                         // 000000009E30: D048004A 00023D1E
	v_bfe_u32 v248, v30, 16, 1                                 // 000000009E38: D1C800F8 0205211E
	v_add3_u32 v248, v30, v248, v251                           // 000000009E40: D1FF00F8 07EFF11E
	v_cndmask_b32_e64 v28, v248, v250, s[74:75]                // 000000009E48: D100001C 012BF5F8
	v_lshrrev_b32_e32 v28, 16, v28                             // 000000009E50: 20383890
	v_cmp_u_f32_e64 s[74:75], v31, v31                         // 000000009E54: D048004A 00023F1F
	v_bfe_u32 v248, v31, 16, 1                                 // 000000009E5C: D1C800F8 0205211F
	v_add3_u32 v248, v31, v248, v251                           // 000000009E64: D1FF00F8 07EFF11F
	v_cndmask_b32_e64 v29, v248, v250, s[74:75]                // 000000009E6C: D100001D 012BF5F8
	v_and_or_b32 v67, v29, v249, v28                           // 000000009E74: D2010043 0473F31D
	v_accvgpr_read_b32 v30, a200                               // 000000009E7C: D3D8401E 180001C8
	v_accvgpr_read_b32 v31, a201                               // 000000009E84: D3D8401F 180001C9
	v_mul_f32_e32 v30, s48, v30                                // 000000009E8C: 0A3C3C30
	v_mul_f32_e32 v31, s48, v31                                // 000000009E90: 0A3E3E30
	v_cmp_u_f32_e64 s[74:75], v30, v30                         // 000000009E94: D048004A 00023D1E
	v_bfe_u32 v248, v30, 16, 1                                 // 000000009E9C: D1C800F8 0205211E
	v_add3_u32 v248, v30, v248, v251                           // 000000009EA4: D1FF00F8 07EFF11E
	v_cndmask_b32_e64 v28, v248, v250, s[74:75]                // 000000009EAC: D100001C 012BF5F8
	v_lshrrev_b32_e32 v28, 16, v28                             // 000000009EB4: 20383890
	v_cmp_u_f32_e64 s[74:75], v31, v31                         // 000000009EB8: D048004A 00023F1F
	v_bfe_u32 v248, v31, 16, 1                                 // 000000009EC0: D1C800F8 0205211F
	v_add3_u32 v248, v31, v248, v251                           // 000000009EC8: D1FF00F8 07EFF11F
	v_cndmask_b32_e64 v29, v248, v250, s[74:75]                // 000000009ED0: D100001D 012BF5F8
	v_and_or_b32 v68, v29, v249, v28                           // 000000009ED8: D2010044 0473F31D
	v_accvgpr_read_b32 v30, a202                               // 000000009EE0: D3D8401E 180001CA
	v_accvgpr_read_b32 v31, a203                               // 000000009EE8: D3D8401F 180001CB
	v_mul_f32_e32 v30, s48, v30                                // 000000009EF0: 0A3C3C30
	v_mul_f32_e32 v31, s48, v31                                // 000000009EF4: 0A3E3E30
	v_cmp_u_f32_e64 s[74:75], v30, v30                         // 000000009EF8: D048004A 00023D1E
	v_bfe_u32 v248, v30, 16, 1                                 // 000000009F00: D1C800F8 0205211E
	v_add3_u32 v248, v30, v248, v251                           // 000000009F08: D1FF00F8 07EFF11E
	v_cndmask_b32_e64 v28, v248, v250, s[74:75]                // 000000009F10: D100001C 012BF5F8
	v_lshrrev_b32_e32 v28, 16, v28                             // 000000009F18: 20383890
	v_cmp_u_f32_e64 s[74:75], v31, v31                         // 000000009F1C: D048004A 00023F1F
	v_bfe_u32 v248, v31, 16, 1                                 // 000000009F24: D1C800F8 0205211F
	v_add3_u32 v248, v31, v248, v251                           // 000000009F2C: D1FF00F8 07EFF11F
	v_cndmask_b32_e64 v29, v248, v250, s[74:75]                // 000000009F34: D100001D 012BF5F8
	v_and_or_b32 v69, v29, v249, v28                           // 000000009F3C: D2010045 0473F31D
	v_accvgpr_read_b32 v30, a204                               // 000000009F44: D3D8401E 180001CC
	v_accvgpr_read_b32 v31, a205                               // 000000009F4C: D3D8401F 180001CD
	v_mul_f32_e32 v30, s48, v30                                // 000000009F54: 0A3C3C30
	v_mul_f32_e32 v31, s48, v31                                // 000000009F58: 0A3E3E30
	v_cmp_u_f32_e64 s[74:75], v30, v30                         // 000000009F5C: D048004A 00023D1E
	v_bfe_u32 v248, v30, 16, 1                                 // 000000009F64: D1C800F8 0205211E
	v_add3_u32 v248, v30, v248, v251                           // 000000009F6C: D1FF00F8 07EFF11E
	v_cndmask_b32_e64 v28, v248, v250, s[74:75]                // 000000009F74: D100001C 012BF5F8
	v_lshrrev_b32_e32 v28, 16, v28                             // 000000009F7C: 20383890
	v_cmp_u_f32_e64 s[74:75], v31, v31                         // 000000009F80: D048004A 00023F1F
	v_bfe_u32 v248, v31, 16, 1                                 // 000000009F88: D1C800F8 0205211F
	v_add3_u32 v248, v31, v248, v251                           // 000000009F90: D1FF00F8 07EFF11F
	v_cndmask_b32_e64 v29, v248, v250, s[74:75]                // 000000009F98: D100001D 012BF5F8
	v_and_or_b32 v70, v29, v249, v28                           // 000000009FA0: D2010046 0473F31D
	v_accvgpr_read_b32 v30, a206                               // 000000009FA8: D3D8401E 180001CE
	v_accvgpr_read_b32 v31, a207                               // 000000009FB0: D3D8401F 180001CF
	v_mul_f32_e32 v30, s48, v30                                // 000000009FB8: 0A3C3C30
	v_mul_f32_e32 v31, s48, v31                                // 000000009FBC: 0A3E3E30
	v_cmp_u_f32_e64 s[74:75], v30, v30                         // 000000009FC0: D048004A 00023D1E
	v_bfe_u32 v248, v30, 16, 1                                 // 000000009FC8: D1C800F8 0205211E
	v_add3_u32 v248, v30, v248, v251                           // 000000009FD0: D1FF00F8 07EFF11E
	v_cndmask_b32_e64 v28, v248, v250, s[74:75]                // 000000009FD8: D100001C 012BF5F8
	v_lshrrev_b32_e32 v28, 16, v28                             // 000000009FE0: 20383890
	v_cmp_u_f32_e64 s[74:75], v31, v31                         // 000000009FE4: D048004A 00023F1F
	v_bfe_u32 v248, v31, 16, 1                                 // 000000009FEC: D1C800F8 0205211F
	v_add3_u32 v248, v31, v248, v251                           // 000000009FF4: D1FF00F8 07EFF11F
	v_cndmask_b32_e64 v29, v248, v250, s[74:75]                // 000000009FFC: D100001D 012BF5F8
	v_and_or_b32 v71, v29, v249, v28                           // 00000000A004: D2010047 0473F31D
	v_accvgpr_read_b32 v30, a208                               // 00000000A00C: D3D8401E 180001D0
	v_accvgpr_read_b32 v31, a209                               // 00000000A014: D3D8401F 180001D1
	v_mul_f32_e32 v30, s48, v30                                // 00000000A01C: 0A3C3C30
	v_mul_f32_e32 v31, s48, v31                                // 00000000A020: 0A3E3E30
	v_cmp_u_f32_e64 s[74:75], v30, v30                         // 00000000A024: D048004A 00023D1E
	v_bfe_u32 v248, v30, 16, 1                                 // 00000000A02C: D1C800F8 0205211E
	v_add3_u32 v248, v30, v248, v251                           // 00000000A034: D1FF00F8 07EFF11E
	v_cndmask_b32_e64 v28, v248, v250, s[74:75]                // 00000000A03C: D100001C 012BF5F8
	v_lshrrev_b32_e32 v28, 16, v28                             // 00000000A044: 20383890
	v_cmp_u_f32_e64 s[74:75], v31, v31                         // 00000000A048: D048004A 00023F1F
	v_bfe_u32 v248, v31, 16, 1                                 // 00000000A050: D1C800F8 0205211F
	v_add3_u32 v248, v31, v248, v251                           // 00000000A058: D1FF00F8 07EFF11F
	v_cndmask_b32_e64 v29, v248, v250, s[74:75]                // 00000000A060: D100001D 012BF5F8
	v_and_or_b32 v72, v29, v249, v28                           // 00000000A068: D2010048 0473F31D
	v_accvgpr_read_b32 v30, a210                               // 00000000A070: D3D8401E 180001D2
	v_accvgpr_read_b32 v31, a211                               // 00000000A078: D3D8401F 180001D3
	v_mul_f32_e32 v30, s48, v30                                // 00000000A080: 0A3C3C30
	v_mul_f32_e32 v31, s48, v31                                // 00000000A084: 0A3E3E30
	v_cmp_u_f32_e64 s[74:75], v30, v30                         // 00000000A088: D048004A 00023D1E
	v_bfe_u32 v248, v30, 16, 1                                 // 00000000A090: D1C800F8 0205211E
	v_add3_u32 v248, v30, v248, v251                           // 00000000A098: D1FF00F8 07EFF11E
	v_cndmask_b32_e64 v28, v248, v250, s[74:75]                // 00000000A0A0: D100001C 012BF5F8
	v_lshrrev_b32_e32 v28, 16, v28                             // 00000000A0A8: 20383890
	v_cmp_u_f32_e64 s[74:75], v31, v31                         // 00000000A0AC: D048004A 00023F1F
	v_bfe_u32 v248, v31, 16, 1                                 // 00000000A0B4: D1C800F8 0205211F
	v_add3_u32 v248, v31, v248, v251                           // 00000000A0BC: D1FF00F8 07EFF11F
	v_cndmask_b32_e64 v29, v248, v250, s[74:75]                // 00000000A0C4: D100001D 012BF5F8
	v_and_or_b32 v73, v29, v249, v28                           // 00000000A0CC: D2010049 0473F31D
	v_accvgpr_read_b32 v30, a212                               // 00000000A0D4: D3D8401E 180001D4
	v_accvgpr_read_b32 v31, a213                               // 00000000A0DC: D3D8401F 180001D5
	v_mul_f32_e32 v30, s48, v30                                // 00000000A0E4: 0A3C3C30
	v_mul_f32_e32 v31, s48, v31                                // 00000000A0E8: 0A3E3E30
	v_cmp_u_f32_e64 s[74:75], v30, v30                         // 00000000A0EC: D048004A 00023D1E
	v_bfe_u32 v248, v30, 16, 1                                 // 00000000A0F4: D1C800F8 0205211E
	v_add3_u32 v248, v30, v248, v251                           // 00000000A0FC: D1FF00F8 07EFF11E
	v_cndmask_b32_e64 v28, v248, v250, s[74:75]                // 00000000A104: D100001C 012BF5F8
	v_lshrrev_b32_e32 v28, 16, v28                             // 00000000A10C: 20383890
	v_cmp_u_f32_e64 s[74:75], v31, v31                         // 00000000A110: D048004A 00023F1F
	v_bfe_u32 v248, v31, 16, 1                                 // 00000000A118: D1C800F8 0205211F
	v_add3_u32 v248, v31, v248, v251                           // 00000000A120: D1FF00F8 07EFF11F
	v_cndmask_b32_e64 v29, v248, v250, s[74:75]                // 00000000A128: D100001D 012BF5F8
	v_and_or_b32 v74, v29, v249, v28                           // 00000000A130: D201004A 0473F31D
	v_accvgpr_read_b32 v30, a214                               // 00000000A138: D3D8401E 180001D6
	v_accvgpr_read_b32 v31, a215                               // 00000000A140: D3D8401F 180001D7
	v_mul_f32_e32 v30, s48, v30                                // 00000000A148: 0A3C3C30
	v_mul_f32_e32 v31, s48, v31                                // 00000000A14C: 0A3E3E30
	v_cmp_u_f32_e64 s[74:75], v30, v30                         // 00000000A150: D048004A 00023D1E
	v_bfe_u32 v248, v30, 16, 1                                 // 00000000A158: D1C800F8 0205211E
	v_add3_u32 v248, v30, v248, v251                           // 00000000A160: D1FF00F8 07EFF11E
	v_cndmask_b32_e64 v28, v248, v250, s[74:75]                // 00000000A168: D100001C 012BF5F8
	v_lshrrev_b32_e32 v28, 16, v28                             // 00000000A170: 20383890
	v_cmp_u_f32_e64 s[74:75], v31, v31                         // 00000000A174: D048004A 00023F1F
	v_bfe_u32 v248, v31, 16, 1                                 // 00000000A17C: D1C800F8 0205211F
	v_add3_u32 v248, v31, v248, v251                           // 00000000A184: D1FF00F8 07EFF11F
	v_cndmask_b32_e64 v29, v248, v250, s[74:75]                // 00000000A18C: D100001D 012BF5F8
	v_and_or_b32 v75, v29, v249, v28                           // 00000000A194: D201004B 0473F31D
	v_accvgpr_read_b32 v30, a216                               // 00000000A19C: D3D8401E 180001D8
	v_accvgpr_read_b32 v31, a217                               // 00000000A1A4: D3D8401F 180001D9
	v_mul_f32_e32 v30, s48, v30                                // 00000000A1AC: 0A3C3C30
	v_mul_f32_e32 v31, s48, v31                                // 00000000A1B0: 0A3E3E30
	v_cmp_u_f32_e64 s[74:75], v30, v30                         // 00000000A1B4: D048004A 00023D1E
	v_bfe_u32 v248, v30, 16, 1                                 // 00000000A1BC: D1C800F8 0205211E
	v_add3_u32 v248, v30, v248, v251                           // 00000000A1C4: D1FF00F8 07EFF11E
	v_cndmask_b32_e64 v28, v248, v250, s[74:75]                // 00000000A1CC: D100001C 012BF5F8
	v_lshrrev_b32_e32 v28, 16, v28                             // 00000000A1D4: 20383890
	v_cmp_u_f32_e64 s[74:75], v31, v31                         // 00000000A1D8: D048004A 00023F1F
	v_bfe_u32 v248, v31, 16, 1                                 // 00000000A1E0: D1C800F8 0205211F
	v_add3_u32 v248, v31, v248, v251                           // 00000000A1E8: D1FF00F8 07EFF11F
	v_cndmask_b32_e64 v29, v248, v250, s[74:75]                // 00000000A1F0: D100001D 012BF5F8
	v_and_or_b32 v76, v29, v249, v28                           // 00000000A1F8: D201004C 0473F31D
	v_accvgpr_read_b32 v30, a218                               // 00000000A200: D3D8401E 180001DA
	v_accvgpr_read_b32 v31, a219                               // 00000000A208: D3D8401F 180001DB
	v_mul_f32_e32 v30, s48, v30                                // 00000000A210: 0A3C3C30
	v_mul_f32_e32 v31, s48, v31                                // 00000000A214: 0A3E3E30
	v_cmp_u_f32_e64 s[74:75], v30, v30                         // 00000000A218: D048004A 00023D1E
	v_bfe_u32 v248, v30, 16, 1                                 // 00000000A220: D1C800F8 0205211E
	v_add3_u32 v248, v30, v248, v251                           // 00000000A228: D1FF00F8 07EFF11E
	v_cndmask_b32_e64 v28, v248, v250, s[74:75]                // 00000000A230: D100001C 012BF5F8
	v_lshrrev_b32_e32 v28, 16, v28                             // 00000000A238: 20383890
	v_cmp_u_f32_e64 s[74:75], v31, v31                         // 00000000A23C: D048004A 00023F1F
	v_bfe_u32 v248, v31, 16, 1                                 // 00000000A244: D1C800F8 0205211F
	v_add3_u32 v248, v31, v248, v251                           // 00000000A24C: D1FF00F8 07EFF11F
	v_cndmask_b32_e64 v29, v248, v250, s[74:75]                // 00000000A254: D100001D 012BF5F8
	v_and_or_b32 v77, v29, v249, v28                           // 00000000A25C: D201004D 0473F31D
	v_accvgpr_read_b32 v30, a220                               // 00000000A264: D3D8401E 180001DC
	v_accvgpr_read_b32 v31, a221                               // 00000000A26C: D3D8401F 180001DD
	v_mul_f32_e32 v30, s48, v30                                // 00000000A274: 0A3C3C30
	v_mul_f32_e32 v31, s48, v31                                // 00000000A278: 0A3E3E30
	v_cmp_u_f32_e64 s[74:75], v30, v30                         // 00000000A27C: D048004A 00023D1E
	v_bfe_u32 v248, v30, 16, 1                                 // 00000000A284: D1C800F8 0205211E
	v_add3_u32 v248, v30, v248, v251                           // 00000000A28C: D1FF00F8 07EFF11E
	v_cndmask_b32_e64 v28, v248, v250, s[74:75]                // 00000000A294: D100001C 012BF5F8
	v_lshrrev_b32_e32 v28, 16, v28                             // 00000000A29C: 20383890
	v_cmp_u_f32_e64 s[74:75], v31, v31                         // 00000000A2A0: D048004A 00023F1F
	v_bfe_u32 v248, v31, 16, 1                                 // 00000000A2A8: D1C800F8 0205211F
	v_add3_u32 v248, v31, v248, v251                           // 00000000A2B0: D1FF00F8 07EFF11F
	v_cndmask_b32_e64 v29, v248, v250, s[74:75]                // 00000000A2B8: D100001D 012BF5F8
	v_and_or_b32 v78, v29, v249, v28                           // 00000000A2C0: D201004E 0473F31D
	v_accvgpr_read_b32 v30, a222                               // 00000000A2C8: D3D8401E 180001DE
	v_accvgpr_read_b32 v31, a223                               // 00000000A2D0: D3D8401F 180001DF
	v_mul_f32_e32 v30, s48, v30                                // 00000000A2D8: 0A3C3C30
	v_mul_f32_e32 v31, s48, v31                                // 00000000A2DC: 0A3E3E30
	v_cmp_u_f32_e64 s[74:75], v30, v30                         // 00000000A2E0: D048004A 00023D1E
	v_bfe_u32 v248, v30, 16, 1                                 // 00000000A2E8: D1C800F8 0205211E
	v_add3_u32 v248, v30, v248, v251                           // 00000000A2F0: D1FF00F8 07EFF11E
	v_cndmask_b32_e64 v28, v248, v250, s[74:75]                // 00000000A2F8: D100001C 012BF5F8
	v_lshrrev_b32_e32 v28, 16, v28                             // 00000000A300: 20383890
	v_cmp_u_f32_e64 s[74:75], v31, v31                         // 00000000A304: D048004A 00023F1F
	v_bfe_u32 v248, v31, 16, 1                                 // 00000000A30C: D1C800F8 0205211F
	v_add3_u32 v248, v31, v248, v251                           // 00000000A314: D1FF00F8 07EFF11F
	v_cndmask_b32_e64 v29, v248, v250, s[74:75]                // 00000000A31C: D100001D 012BF5F8
	v_and_or_b32 v79, v29, v249, v28                           // 00000000A324: D201004F 0473F31D
	ds_write_b64 v27, v[64:65] offset:16896                    // 00000000A32C: D89A4200 0000401B
	ds_write_b64 v27, v[66:67] offset:17424                    // 00000000A334: D89A4410 0000421B
	ds_write_b64 v27, v[68:69] offset:17952                    // 00000000A33C: D89A4620 0000441B
	ds_write_b64 v27, v[70:71] offset:18480                    // 00000000A344: D89A4830 0000461B
	ds_write_b64 v27, v[72:73] offset:19008                    // 00000000A34C: D89A4A40 0000481B
	ds_write_b64 v27, v[74:75] offset:19536                    // 00000000A354: D89A4C50 00004A1B
	ds_write_b64 v27, v[76:77] offset:20064                    // 00000000A35C: D89A4E60 00004C1B
	ds_write_b64 v27, v[78:79] offset:20592                    // 00000000A364: D89A5070 00004E1B
	s_waitcnt lgkmcnt(0)                                       // 00000000A36C: BF8CC07F
	s_barrier                                                  // 00000000A370: BF8A0000
	ds_read_b64 v[64:65], v26 offset:16896                     // 00000000A374: D8EC4200 4000001A
	ds_read_b64 v[66:67], v26 offset:17024                     // 00000000A37C: D8EC4280 4200001A
	ds_read_b64 v[68:69], v26 offset:16928                     // 00000000A384: D8EC4220 4400001A
	ds_read_b64 v[70:71], v26 offset:17056                     // 00000000A38C: D8EC42A0 4600001A
	ds_read_b64 v[72:73], v26 offset:16960                     // 00000000A394: D8EC4240 4800001A
	ds_read_b64 v[74:75], v26 offset:17088                     // 00000000A39C: D8EC42C0 4A00001A
	ds_read_b64 v[76:77], v26 offset:16992                     // 00000000A3A4: D8EC4260 4C00001A
	ds_read_b64 v[78:79], v26 offset:17120                     // 00000000A3AC: D8EC42E0 4E00001A
	s_waitcnt lgkmcnt(0)                                       // 00000000A3B4: BF8CC07F
	s_mov_b64 exec, s[90:91]                                   // 00000000A3B8: BEFE015A
	buffer_store_dwordx4 v[64:67], v5, s[36:39], 0 idxen       // 00000000A3BC: E07C2000 80094005
	s_mov_b64 exec, s[86:87]                                   // 00000000A3C4: BEFE0156
	v_add_u32_e32 v5, s46, v5                                  // 00000000A3C8: 680A0A2E
	s_mov_b64 exec, s[90:91]                                   // 00000000A3CC: BEFE015A
	buffer_store_dwordx4 v[68:71], v5, s[36:39], 0 idxen       // 00000000A3D0: E07C2000 80094405
	s_mov_b64 exec, s[86:87]                                   // 00000000A3D8: BEFE0156
	v_add_u32_e32 v5, s46, v5                                  // 00000000A3DC: 680A0A2E
	s_mov_b64 exec, s[90:91]                                   // 00000000A3E0: BEFE015A
	buffer_store_dwordx4 v[72:75], v5, s[36:39], 0 idxen       // 00000000A3E4: E07C2000 80094805
	s_mov_b64 exec, s[86:87]                                   // 00000000A3EC: BEFE0156
	v_add_u32_e32 v5, s46, v5                                  // 00000000A3F0: 680A0A2E
	s_mov_b64 exec, s[90:91]                                   // 00000000A3F4: BEFE015A
	buffer_store_dwordx4 v[76:79], v5, s[36:39], 0 idxen       // 00000000A3F8: E07C2000 80094C05
	s_mov_b64 exec, s[86:87]                                   // 00000000A400: BEFE0156
	v_add_u32_e32 v5, s46, v5                                  // 00000000A404: 680A0A2E
	s_mul_i32 s60, 12, s46                                     // 00000000A408: 923C2E8C
	v_add_u32_e32 v5, s60, v5                                  // 00000000A40C: 680A0A3C
	s_barrier                                                  // 00000000A410: BF8A0000
	s_cmp_ge_i32 2, s73                                        // 00000000A414: BF034982
	s_cbranch_scc1 label_1B53                                  // 00000000A418: BF8501CC
	v_accvgpr_read_b32 v30, a224                               // 00000000A41C: D3D8401E 180001E0
	v_accvgpr_read_b32 v31, a225                               // 00000000A424: D3D8401F 180001E1
	v_mul_f32_e32 v30, s48, v30                                // 00000000A42C: 0A3C3C30
	v_mul_f32_e32 v31, s48, v31                                // 00000000A430: 0A3E3E30
	v_cmp_u_f32_e64 s[74:75], v30, v30                         // 00000000A434: D048004A 00023D1E
	v_bfe_u32 v248, v30, 16, 1                                 // 00000000A43C: D1C800F8 0205211E
	v_add3_u32 v248, v30, v248, v251                           // 00000000A444: D1FF00F8 07EFF11E
	v_cndmask_b32_e64 v28, v248, v250, s[74:75]                // 00000000A44C: D100001C 012BF5F8
	v_lshrrev_b32_e32 v28, 16, v28                             // 00000000A454: 20383890
	v_cmp_u_f32_e64 s[74:75], v31, v31                         // 00000000A458: D048004A 00023F1F
	v_bfe_u32 v248, v31, 16, 1                                 // 00000000A460: D1C800F8 0205211F
	v_add3_u32 v248, v31, v248, v251                           // 00000000A468: D1FF00F8 07EFF11F
	v_cndmask_b32_e64 v29, v248, v250, s[74:75]                // 00000000A470: D100001D 012BF5F8
	v_and_or_b32 v80, v29, v249, v28                           // 00000000A478: D2010050 0473F31D
	v_accvgpr_read_b32 v30, a226                               // 00000000A480: D3D8401E 180001E2
	v_accvgpr_read_b32 v31, a227                               // 00000000A488: D3D8401F 180001E3
	v_mul_f32_e32 v30, s48, v30                                // 00000000A490: 0A3C3C30
	v_mul_f32_e32 v31, s48, v31                                // 00000000A494: 0A3E3E30
	v_cmp_u_f32_e64 s[74:75], v30, v30                         // 00000000A498: D048004A 00023D1E
	v_bfe_u32 v248, v30, 16, 1                                 // 00000000A4A0: D1C800F8 0205211E
	v_add3_u32 v248, v30, v248, v251                           // 00000000A4A8: D1FF00F8 07EFF11E
	v_cndmask_b32_e64 v28, v248, v250, s[74:75]                // 00000000A4B0: D100001C 012BF5F8
	v_lshrrev_b32_e32 v28, 16, v28                             // 00000000A4B8: 20383890
	v_cmp_u_f32_e64 s[74:75], v31, v31                         // 00000000A4BC: D048004A 00023F1F
	v_bfe_u32 v248, v31, 16, 1                                 // 00000000A4C4: D1C800F8 0205211F
	v_add3_u32 v248, v31, v248, v251                           // 00000000A4CC: D1FF00F8 07EFF11F
	v_cndmask_b32_e64 v29, v248, v250, s[74:75]                // 00000000A4D4: D100001D 012BF5F8
	v_and_or_b32 v81, v29, v249, v28                           // 00000000A4DC: D2010051 0473F31D
	v_accvgpr_read_b32 v30, a228                               // 00000000A4E4: D3D8401E 180001E4
	v_accvgpr_read_b32 v31, a229                               // 00000000A4EC: D3D8401F 180001E5
	v_mul_f32_e32 v30, s48, v30                                // 00000000A4F4: 0A3C3C30
	v_mul_f32_e32 v31, s48, v31                                // 00000000A4F8: 0A3E3E30
	v_cmp_u_f32_e64 s[74:75], v30, v30                         // 00000000A4FC: D048004A 00023D1E
	v_bfe_u32 v248, v30, 16, 1                                 // 00000000A504: D1C800F8 0205211E
	v_add3_u32 v248, v30, v248, v251                           // 00000000A50C: D1FF00F8 07EFF11E
	v_cndmask_b32_e64 v28, v248, v250, s[74:75]                // 00000000A514: D100001C 012BF5F8
	v_lshrrev_b32_e32 v28, 16, v28                             // 00000000A51C: 20383890
	v_cmp_u_f32_e64 s[74:75], v31, v31                         // 00000000A520: D048004A 00023F1F
	v_bfe_u32 v248, v31, 16, 1                                 // 00000000A528: D1C800F8 0205211F
	v_add3_u32 v248, v31, v248, v251                           // 00000000A530: D1FF00F8 07EFF11F
	v_cndmask_b32_e64 v29, v248, v250, s[74:75]                // 00000000A538: D100001D 012BF5F8
	v_and_or_b32 v82, v29, v249, v28                           // 00000000A540: D2010052 0473F31D
	v_accvgpr_read_b32 v30, a230                               // 00000000A548: D3D8401E 180001E6
	v_accvgpr_read_b32 v31, a231                               // 00000000A550: D3D8401F 180001E7
	v_mul_f32_e32 v30, s48, v30                                // 00000000A558: 0A3C3C30
	v_mul_f32_e32 v31, s48, v31                                // 00000000A55C: 0A3E3E30
	v_cmp_u_f32_e64 s[74:75], v30, v30                         // 00000000A560: D048004A 00023D1E
	v_bfe_u32 v248, v30, 16, 1                                 // 00000000A568: D1C800F8 0205211E
	v_add3_u32 v248, v30, v248, v251                           // 00000000A570: D1FF00F8 07EFF11E
	v_cndmask_b32_e64 v28, v248, v250, s[74:75]                // 00000000A578: D100001C 012BF5F8
	v_lshrrev_b32_e32 v28, 16, v28                             // 00000000A580: 20383890
	v_cmp_u_f32_e64 s[74:75], v31, v31                         // 00000000A584: D048004A 00023F1F
	v_bfe_u32 v248, v31, 16, 1                                 // 00000000A58C: D1C800F8 0205211F
	v_add3_u32 v248, v31, v248, v251                           // 00000000A594: D1FF00F8 07EFF11F
	v_cndmask_b32_e64 v29, v248, v250, s[74:75]                // 00000000A59C: D100001D 012BF5F8
	v_and_or_b32 v83, v29, v249, v28                           // 00000000A5A4: D2010053 0473F31D
	v_accvgpr_read_b32 v30, a232                               // 00000000A5AC: D3D8401E 180001E8
	v_accvgpr_read_b32 v31, a233                               // 00000000A5B4: D3D8401F 180001E9
	v_mul_f32_e32 v30, s48, v30                                // 00000000A5BC: 0A3C3C30
	v_mul_f32_e32 v31, s48, v31                                // 00000000A5C0: 0A3E3E30
	v_cmp_u_f32_e64 s[74:75], v30, v30                         // 00000000A5C4: D048004A 00023D1E
	v_bfe_u32 v248, v30, 16, 1                                 // 00000000A5CC: D1C800F8 0205211E
	v_add3_u32 v248, v30, v248, v251                           // 00000000A5D4: D1FF00F8 07EFF11E
	v_cndmask_b32_e64 v28, v248, v250, s[74:75]                // 00000000A5DC: D100001C 012BF5F8
	v_lshrrev_b32_e32 v28, 16, v28                             // 00000000A5E4: 20383890
	v_cmp_u_f32_e64 s[74:75], v31, v31                         // 00000000A5E8: D048004A 00023F1F
	v_bfe_u32 v248, v31, 16, 1                                 // 00000000A5F0: D1C800F8 0205211F
	v_add3_u32 v248, v31, v248, v251                           // 00000000A5F8: D1FF00F8 07EFF11F
	v_cndmask_b32_e64 v29, v248, v250, s[74:75]                // 00000000A600: D100001D 012BF5F8
	v_and_or_b32 v84, v29, v249, v28                           // 00000000A608: D2010054 0473F31D
	v_accvgpr_read_b32 v30, a234                               // 00000000A610: D3D8401E 180001EA
	v_accvgpr_read_b32 v31, a235                               // 00000000A618: D3D8401F 180001EB
	v_mul_f32_e32 v30, s48, v30                                // 00000000A620: 0A3C3C30
	v_mul_f32_e32 v31, s48, v31                                // 00000000A624: 0A3E3E30
	v_cmp_u_f32_e64 s[74:75], v30, v30                         // 00000000A628: D048004A 00023D1E
	v_bfe_u32 v248, v30, 16, 1                                 // 00000000A630: D1C800F8 0205211E
	v_add3_u32 v248, v30, v248, v251                           // 00000000A638: D1FF00F8 07EFF11E
	v_cndmask_b32_e64 v28, v248, v250, s[74:75]                // 00000000A640: D100001C 012BF5F8
	v_lshrrev_b32_e32 v28, 16, v28                             // 00000000A648: 20383890
	v_cmp_u_f32_e64 s[74:75], v31, v31                         // 00000000A64C: D048004A 00023F1F
	v_bfe_u32 v248, v31, 16, 1                                 // 00000000A654: D1C800F8 0205211F
	v_add3_u32 v248, v31, v248, v251                           // 00000000A65C: D1FF00F8 07EFF11F
	v_cndmask_b32_e64 v29, v248, v250, s[74:75]                // 00000000A664: D100001D 012BF5F8
	v_and_or_b32 v85, v29, v249, v28                           // 00000000A66C: D2010055 0473F31D
	v_accvgpr_read_b32 v30, a236                               // 00000000A674: D3D8401E 180001EC
	v_accvgpr_read_b32 v31, a237                               // 00000000A67C: D3D8401F 180001ED
	v_mul_f32_e32 v30, s48, v30                                // 00000000A684: 0A3C3C30
	v_mul_f32_e32 v31, s48, v31                                // 00000000A688: 0A3E3E30
	v_cmp_u_f32_e64 s[74:75], v30, v30                         // 00000000A68C: D048004A 00023D1E
	v_bfe_u32 v248, v30, 16, 1                                 // 00000000A694: D1C800F8 0205211E
	v_add3_u32 v248, v30, v248, v251                           // 00000000A69C: D1FF00F8 07EFF11E
	v_cndmask_b32_e64 v28, v248, v250, s[74:75]                // 00000000A6A4: D100001C 012BF5F8
	v_lshrrev_b32_e32 v28, 16, v28                             // 00000000A6AC: 20383890
	v_cmp_u_f32_e64 s[74:75], v31, v31                         // 00000000A6B0: D048004A 00023F1F
	v_bfe_u32 v248, v31, 16, 1                                 // 00000000A6B8: D1C800F8 0205211F
	v_add3_u32 v248, v31, v248, v251                           // 00000000A6C0: D1FF00F8 07EFF11F
	v_cndmask_b32_e64 v29, v248, v250, s[74:75]                // 00000000A6C8: D100001D 012BF5F8
	v_and_or_b32 v86, v29, v249, v28                           // 00000000A6D0: D2010056 0473F31D
	v_accvgpr_read_b32 v30, a238                               // 00000000A6D8: D3D8401E 180001EE
	v_accvgpr_read_b32 v31, a239                               // 00000000A6E0: D3D8401F 180001EF
	v_mul_f32_e32 v30, s48, v30                                // 00000000A6E8: 0A3C3C30
	v_mul_f32_e32 v31, s48, v31                                // 00000000A6EC: 0A3E3E30
	v_cmp_u_f32_e64 s[74:75], v30, v30                         // 00000000A6F0: D048004A 00023D1E
	v_bfe_u32 v248, v30, 16, 1                                 // 00000000A6F8: D1C800F8 0205211E
	v_add3_u32 v248, v30, v248, v251                           // 00000000A700: D1FF00F8 07EFF11E
	v_cndmask_b32_e64 v28, v248, v250, s[74:75]                // 00000000A708: D100001C 012BF5F8
	v_lshrrev_b32_e32 v28, 16, v28                             // 00000000A710: 20383890
	v_cmp_u_f32_e64 s[74:75], v31, v31                         // 00000000A714: D048004A 00023F1F
	v_bfe_u32 v248, v31, 16, 1                                 // 00000000A71C: D1C800F8 0205211F
	v_add3_u32 v248, v31, v248, v251                           // 00000000A724: D1FF00F8 07EFF11F
	v_cndmask_b32_e64 v29, v248, v250, s[74:75]                // 00000000A72C: D100001D 012BF5F8
	v_and_or_b32 v87, v29, v249, v28                           // 00000000A734: D2010057 0473F31D
	v_accvgpr_read_b32 v30, a240                               // 00000000A73C: D3D8401E 180001F0
	v_accvgpr_read_b32 v31, a241                               // 00000000A744: D3D8401F 180001F1
	v_mul_f32_e32 v30, s48, v30                                // 00000000A74C: 0A3C3C30
	v_mul_f32_e32 v31, s48, v31                                // 00000000A750: 0A3E3E30
	v_cmp_u_f32_e64 s[74:75], v30, v30                         // 00000000A754: D048004A 00023D1E
	v_bfe_u32 v248, v30, 16, 1                                 // 00000000A75C: D1C800F8 0205211E
	v_add3_u32 v248, v30, v248, v251                           // 00000000A764: D1FF00F8 07EFF11E
	v_cndmask_b32_e64 v28, v248, v250, s[74:75]                // 00000000A76C: D100001C 012BF5F8
	v_lshrrev_b32_e32 v28, 16, v28                             // 00000000A774: 20383890
	v_cmp_u_f32_e64 s[74:75], v31, v31                         // 00000000A778: D048004A 00023F1F
	v_bfe_u32 v248, v31, 16, 1                                 // 00000000A780: D1C800F8 0205211F
	v_add3_u32 v248, v31, v248, v251                           // 00000000A788: D1FF00F8 07EFF11F
	v_cndmask_b32_e64 v29, v248, v250, s[74:75]                // 00000000A790: D100001D 012BF5F8
	v_and_or_b32 v88, v29, v249, v28                           // 00000000A798: D2010058 0473F31D
	v_accvgpr_read_b32 v30, a242                               // 00000000A7A0: D3D8401E 180001F2
	v_accvgpr_read_b32 v31, a243                               // 00000000A7A8: D3D8401F 180001F3
	v_mul_f32_e32 v30, s48, v30                                // 00000000A7B0: 0A3C3C30
	v_mul_f32_e32 v31, s48, v31                                // 00000000A7B4: 0A3E3E30
	v_cmp_u_f32_e64 s[74:75], v30, v30                         // 00000000A7B8: D048004A 00023D1E
	v_bfe_u32 v248, v30, 16, 1                                 // 00000000A7C0: D1C800F8 0205211E
	v_add3_u32 v248, v30, v248, v251                           // 00000000A7C8: D1FF00F8 07EFF11E
	v_cndmask_b32_e64 v28, v248, v250, s[74:75]                // 00000000A7D0: D100001C 012BF5F8
	v_lshrrev_b32_e32 v28, 16, v28                             // 00000000A7D8: 20383890
	v_cmp_u_f32_e64 s[74:75], v31, v31                         // 00000000A7DC: D048004A 00023F1F
	v_bfe_u32 v248, v31, 16, 1                                 // 00000000A7E4: D1C800F8 0205211F
	v_add3_u32 v248, v31, v248, v251                           // 00000000A7EC: D1FF00F8 07EFF11F
	v_cndmask_b32_e64 v29, v248, v250, s[74:75]                // 00000000A7F4: D100001D 012BF5F8
	v_and_or_b32 v89, v29, v249, v28                           // 00000000A7FC: D2010059 0473F31D
	v_accvgpr_read_b32 v30, a244                               // 00000000A804: D3D8401E 180001F4
	v_accvgpr_read_b32 v31, a245                               // 00000000A80C: D3D8401F 180001F5
	v_mul_f32_e32 v30, s48, v30                                // 00000000A814: 0A3C3C30
	v_mul_f32_e32 v31, s48, v31                                // 00000000A818: 0A3E3E30
	v_cmp_u_f32_e64 s[74:75], v30, v30                         // 00000000A81C: D048004A 00023D1E
	v_bfe_u32 v248, v30, 16, 1                                 // 00000000A824: D1C800F8 0205211E
	v_add3_u32 v248, v30, v248, v251                           // 00000000A82C: D1FF00F8 07EFF11E
	v_cndmask_b32_e64 v28, v248, v250, s[74:75]                // 00000000A834: D100001C 012BF5F8
	v_lshrrev_b32_e32 v28, 16, v28                             // 00000000A83C: 20383890
	v_cmp_u_f32_e64 s[74:75], v31, v31                         // 00000000A840: D048004A 00023F1F
	v_bfe_u32 v248, v31, 16, 1                                 // 00000000A848: D1C800F8 0205211F
	v_add3_u32 v248, v31, v248, v251                           // 00000000A850: D1FF00F8 07EFF11F
	v_cndmask_b32_e64 v29, v248, v250, s[74:75]                // 00000000A858: D100001D 012BF5F8
	v_and_or_b32 v90, v29, v249, v28                           // 00000000A860: D201005A 0473F31D
	v_accvgpr_read_b32 v30, a246                               // 00000000A868: D3D8401E 180001F6
	v_accvgpr_read_b32 v31, a247                               // 00000000A870: D3D8401F 180001F7
	v_mul_f32_e32 v30, s48, v30                                // 00000000A878: 0A3C3C30
	v_mul_f32_e32 v31, s48, v31                                // 00000000A87C: 0A3E3E30
	v_cmp_u_f32_e64 s[74:75], v30, v30                         // 00000000A880: D048004A 00023D1E
	v_bfe_u32 v248, v30, 16, 1                                 // 00000000A888: D1C800F8 0205211E
	v_add3_u32 v248, v30, v248, v251                           // 00000000A890: D1FF00F8 07EFF11E
	v_cndmask_b32_e64 v28, v248, v250, s[74:75]                // 00000000A898: D100001C 012BF5F8
	v_lshrrev_b32_e32 v28, 16, v28                             // 00000000A8A0: 20383890
	v_cmp_u_f32_e64 s[74:75], v31, v31                         // 00000000A8A4: D048004A 00023F1F
	v_bfe_u32 v248, v31, 16, 1                                 // 00000000A8AC: D1C800F8 0205211F
	v_add3_u32 v248, v31, v248, v251                           // 00000000A8B4: D1FF00F8 07EFF11F
	v_cndmask_b32_e64 v29, v248, v250, s[74:75]                // 00000000A8BC: D100001D 012BF5F8
	v_and_or_b32 v91, v29, v249, v28                           // 00000000A8C4: D201005B 0473F31D
	v_accvgpr_read_b32 v30, a248                               // 00000000A8CC: D3D8401E 180001F8
	v_accvgpr_read_b32 v31, a249                               // 00000000A8D4: D3D8401F 180001F9
	v_mul_f32_e32 v30, s48, v30                                // 00000000A8DC: 0A3C3C30
	v_mul_f32_e32 v31, s48, v31                                // 00000000A8E0: 0A3E3E30
	v_cmp_u_f32_e64 s[74:75], v30, v30                         // 00000000A8E4: D048004A 00023D1E
	v_bfe_u32 v248, v30, 16, 1                                 // 00000000A8EC: D1C800F8 0205211E
	v_add3_u32 v248, v30, v248, v251                           // 00000000A8F4: D1FF00F8 07EFF11E
	v_cndmask_b32_e64 v28, v248, v250, s[74:75]                // 00000000A8FC: D100001C 012BF5F8
	v_lshrrev_b32_e32 v28, 16, v28                             // 00000000A904: 20383890
	v_cmp_u_f32_e64 s[74:75], v31, v31                         // 00000000A908: D048004A 00023F1F
	v_bfe_u32 v248, v31, 16, 1                                 // 00000000A910: D1C800F8 0205211F
	v_add3_u32 v248, v31, v248, v251                           // 00000000A918: D1FF00F8 07EFF11F
	v_cndmask_b32_e64 v29, v248, v250, s[74:75]                // 00000000A920: D100001D 012BF5F8
	v_and_or_b32 v92, v29, v249, v28                           // 00000000A928: D201005C 0473F31D
	v_accvgpr_read_b32 v30, a250                               // 00000000A930: D3D8401E 180001FA
	v_accvgpr_read_b32 v31, a251                               // 00000000A938: D3D8401F 180001FB
	v_mul_f32_e32 v30, s48, v30                                // 00000000A940: 0A3C3C30
	v_mul_f32_e32 v31, s48, v31                                // 00000000A944: 0A3E3E30
	v_cmp_u_f32_e64 s[74:75], v30, v30                         // 00000000A948: D048004A 00023D1E
	v_bfe_u32 v248, v30, 16, 1                                 // 00000000A950: D1C800F8 0205211E
	v_add3_u32 v248, v30, v248, v251                           // 00000000A958: D1FF00F8 07EFF11E
	v_cndmask_b32_e64 v28, v248, v250, s[74:75]                // 00000000A960: D100001C 012BF5F8
	v_lshrrev_b32_e32 v28, 16, v28                             // 00000000A968: 20383890
	v_cmp_u_f32_e64 s[74:75], v31, v31                         // 00000000A96C: D048004A 00023F1F
	v_bfe_u32 v248, v31, 16, 1                                 // 00000000A974: D1C800F8 0205211F
	v_add3_u32 v248, v31, v248, v251                           // 00000000A97C: D1FF00F8 07EFF11F
	v_cndmask_b32_e64 v29, v248, v250, s[74:75]                // 00000000A984: D100001D 012BF5F8
	v_and_or_b32 v93, v29, v249, v28                           // 00000000A98C: D201005D 0473F31D
	v_accvgpr_read_b32 v30, a252                               // 00000000A994: D3D8401E 180001FC
	v_accvgpr_read_b32 v31, a253                               // 00000000A99C: D3D8401F 180001FD
	v_mul_f32_e32 v30, s48, v30                                // 00000000A9A4: 0A3C3C30
	v_mul_f32_e32 v31, s48, v31                                // 00000000A9A8: 0A3E3E30
	v_cmp_u_f32_e64 s[74:75], v30, v30                         // 00000000A9AC: D048004A 00023D1E
	v_bfe_u32 v248, v30, 16, 1                                 // 00000000A9B4: D1C800F8 0205211E
	v_add3_u32 v248, v30, v248, v251                           // 00000000A9BC: D1FF00F8 07EFF11E
	v_cndmask_b32_e64 v28, v248, v250, s[74:75]                // 00000000A9C4: D100001C 012BF5F8
	v_lshrrev_b32_e32 v28, 16, v28                             // 00000000A9CC: 20383890
	v_cmp_u_f32_e64 s[74:75], v31, v31                         // 00000000A9D0: D048004A 00023F1F
	v_bfe_u32 v248, v31, 16, 1                                 // 00000000A9D8: D1C800F8 0205211F
	v_add3_u32 v248, v31, v248, v251                           // 00000000A9E0: D1FF00F8 07EFF11F
	v_cndmask_b32_e64 v29, v248, v250, s[74:75]                // 00000000A9E8: D100001D 012BF5F8
	v_and_or_b32 v94, v29, v249, v28                           // 00000000A9F0: D201005E 0473F31D
	v_accvgpr_read_b32 v30, a254                               // 00000000A9F8: D3D8401E 180001FE
	v_accvgpr_read_b32 v31, a255                               // 00000000AA00: D3D8401F 180001FF
	v_mul_f32_e32 v30, s48, v30                                // 00000000AA08: 0A3C3C30
	v_mul_f32_e32 v31, s48, v31                                // 00000000AA0C: 0A3E3E30
	v_cmp_u_f32_e64 s[74:75], v30, v30                         // 00000000AA10: D048004A 00023D1E
	v_bfe_u32 v248, v30, 16, 1                                 // 00000000AA18: D1C800F8 0205211E
	v_add3_u32 v248, v30, v248, v251                           // 00000000AA20: D1FF00F8 07EFF11E
	v_cndmask_b32_e64 v28, v248, v250, s[74:75]                // 00000000AA28: D100001C 012BF5F8
	v_lshrrev_b32_e32 v28, 16, v28                             // 00000000AA30: 20383890
	v_cmp_u_f32_e64 s[74:75], v31, v31                         // 00000000AA34: D048004A 00023F1F
	v_bfe_u32 v248, v31, 16, 1                                 // 00000000AA3C: D1C800F8 0205211F
	v_add3_u32 v248, v31, v248, v251                           // 00000000AA44: D1FF00F8 07EFF11F
	v_cndmask_b32_e64 v29, v248, v250, s[74:75]                // 00000000AA4C: D100001D 012BF5F8
	v_and_or_b32 v95, v29, v249, v28                           // 00000000AA54: D201005F 0473F31D
	ds_write_b64 v27, v[80:81] offset:33792                    // 00000000AA5C: D89A8400 0000501B
	ds_write_b64 v27, v[82:83] offset:34320                    // 00000000AA64: D89A8610 0000521B
	ds_write_b64 v27, v[84:85] offset:34848                    // 00000000AA6C: D89A8820 0000541B
	ds_write_b64 v27, v[86:87] offset:35376                    // 00000000AA74: D89A8A30 0000561B
	ds_write_b64 v27, v[88:89] offset:35904                    // 00000000AA7C: D89A8C40 0000581B
	ds_write_b64 v27, v[90:91] offset:36432                    // 00000000AA84: D89A8E50 00005A1B
	ds_write_b64 v27, v[92:93] offset:36960                    // 00000000AA8C: D89A9060 00005C1B
	ds_write_b64 v27, v[94:95] offset:37488                    // 00000000AA94: D89A9270 00005E1B
	s_waitcnt lgkmcnt(0)                                       // 00000000AA9C: BF8CC07F
	s_barrier                                                  // 00000000AAA0: BF8A0000
	ds_read_b64 v[80:81], v26 offset:33792                     // 00000000AAA4: D8EC8400 5000001A
	ds_read_b64 v[82:83], v26 offset:33920                     // 00000000AAAC: D8EC8480 5200001A
	ds_read_b64 v[84:85], v26 offset:33824                     // 00000000AAB4: D8EC8420 5400001A
	ds_read_b64 v[86:87], v26 offset:33952                     // 00000000AABC: D8EC84A0 5600001A
	ds_read_b64 v[88:89], v26 offset:33856                     // 00000000AAC4: D8EC8440 5800001A
	ds_read_b64 v[90:91], v26 offset:33984                     // 00000000AACC: D8EC84C0 5A00001A
	ds_read_b64 v[92:93], v26 offset:33888                     // 00000000AAD4: D8EC8460 5C00001A
	ds_read_b64 v[94:95], v26 offset:34016                     // 00000000AADC: D8EC84E0 5E00001A
	s_waitcnt lgkmcnt(0)                                       // 00000000AAE4: BF8CC07F
	s_mov_b64 exec, s[90:91]                                   // 00000000AAE8: BEFE015A
	buffer_store_dwordx4 v[80:83], v5, s[36:39], 0 idxen       // 00000000AAEC: E07C2000 80095005
	s_mov_b64 exec, s[86:87]                                   // 00000000AAF4: BEFE0156
	v_add_u32_e32 v5, s46, v5                                  // 00000000AAF8: 680A0A2E
	s_mov_b64 exec, s[90:91]                                   // 00000000AAFC: BEFE015A
	buffer_store_dwordx4 v[84:87], v5, s[36:39], 0 idxen       // 00000000AB00: E07C2000 80095405
	s_mov_b64 exec, s[86:87]                                   // 00000000AB08: BEFE0156
	v_add_u32_e32 v5, s46, v5                                  // 00000000AB0C: 680A0A2E
	s_mov_b64 exec, s[90:91]                                   // 00000000AB10: BEFE015A
	buffer_store_dwordx4 v[88:91], v5, s[36:39], 0 idxen       // 00000000AB14: E07C2000 80095805
	s_mov_b64 exec, s[86:87]                                   // 00000000AB1C: BEFE0156
	v_add_u32_e32 v5, s46, v5                                  // 00000000AB20: 680A0A2E
	s_mov_b64 exec, s[90:91]                                   // 00000000AB24: BEFE015A
	buffer_store_dwordx4 v[92:95], v5, s[36:39], 0 idxen       // 00000000AB28: E07C2000 80095C05
	s_mov_b64 exec, s[86:87]                                   // 00000000AB30: BEFE0156
	v_add_u32_e32 v5, s46, v5                                  // 00000000AB34: 680A0A2E
	s_mul_i32 s60, 12, s46                                     // 00000000AB38: 923C2E8C
	v_add_u32_e32 v5, s60, v5                                  // 00000000AB3C: 680A0A3C
	s_barrier                                                  // 00000000AB40: BF8A0000
	s_cmp_ge_i32 3, s73                                        // 00000000AB44: BF034983
	s_cbranch_scc1 label_1B53                                  // 00000000AB48: BF850000

000000000000ab4c <label_1B53>:
	v_mov_b32_e32 v30, v152                                    // 00000000AB4C: 7E3C0398
	v_mov_b32_e32 v31, v153                                    // 00000000AB50: 7E3E0399
	v_cmp_u_f32_e64 s[74:75], v30, v30                         // 00000000AB54: D048004A 00023D1E
	v_bfe_u32 v248, v30, 16, 1                                 // 00000000AB5C: D1C800F8 0205211E
	v_add3_u32 v248, v30, v248, v251                           // 00000000AB64: D1FF00F8 07EFF11E
	v_cndmask_b32_e64 v28, v248, v250, s[74:75]                // 00000000AB6C: D100001C 012BF5F8
	v_lshrrev_b32_e32 v28, 16, v28                             // 00000000AB74: 20383890
	v_cmp_u_f32_e64 s[74:75], v31, v31                         // 00000000AB78: D048004A 00023F1F
	v_bfe_u32 v248, v31, 16, 1                                 // 00000000AB80: D1C800F8 0205211F
	v_add3_u32 v248, v31, v248, v251                           // 00000000AB88: D1FF00F8 07EFF11F
	v_cndmask_b32_e64 v29, v248, v250, s[74:75]                // 00000000AB90: D100001D 012BF5F8
	v_and_or_b32 v152, v29, v249, v28                          // 00000000AB98: D2010098 0473F31D
	v_mov_b32_e32 v30, v154                                    // 00000000ABA0: 7E3C039A
	v_mov_b32_e32 v31, v155                                    // 00000000ABA4: 7E3E039B
	v_cmp_u_f32_e64 s[74:75], v30, v30                         // 00000000ABA8: D048004A 00023D1E
	v_bfe_u32 v248, v30, 16, 1                                 // 00000000ABB0: D1C800F8 0205211E
	v_add3_u32 v248, v30, v248, v251                           // 00000000ABB8: D1FF00F8 07EFF11E
	v_cndmask_b32_e64 v28, v248, v250, s[74:75]                // 00000000ABC0: D100001C 012BF5F8
	v_lshrrev_b32_e32 v28, 16, v28                             // 00000000ABC8: 20383890
	v_cmp_u_f32_e64 s[74:75], v31, v31                         // 00000000ABCC: D048004A 00023F1F
	v_bfe_u32 v248, v31, 16, 1                                 // 00000000ABD4: D1C800F8 0205211F
	v_add3_u32 v248, v31, v248, v251                           // 00000000ABDC: D1FF00F8 07EFF11F
	v_cndmask_b32_e64 v29, v248, v250, s[74:75]                // 00000000ABE4: D100001D 012BF5F8
	v_and_or_b32 v153, v29, v249, v28                          // 00000000ABEC: D2010099 0473F31D
	v_mov_b32_e32 v30, v156                                    // 00000000ABF4: 7E3C039C
	v_mov_b32_e32 v31, v157                                    // 00000000ABF8: 7E3E039D
	v_cmp_u_f32_e64 s[74:75], v30, v30                         // 00000000ABFC: D048004A 00023D1E
	v_bfe_u32 v248, v30, 16, 1                                 // 00000000AC04: D1C800F8 0205211E
	v_add3_u32 v248, v30, v248, v251                           // 00000000AC0C: D1FF00F8 07EFF11E
	v_cndmask_b32_e64 v28, v248, v250, s[74:75]                // 00000000AC14: D100001C 012BF5F8
	v_lshrrev_b32_e32 v28, 16, v28                             // 00000000AC1C: 20383890
	v_cmp_u_f32_e64 s[74:75], v31, v31                         // 00000000AC20: D048004A 00023F1F
	v_bfe_u32 v248, v31, 16, 1                                 // 00000000AC28: D1C800F8 0205211F
	v_add3_u32 v248, v31, v248, v251                           // 00000000AC30: D1FF00F8 07EFF11F
	v_cndmask_b32_e64 v29, v248, v250, s[74:75]                // 00000000AC38: D100001D 012BF5F8
	v_and_or_b32 v154, v29, v249, v28                          // 00000000AC40: D201009A 0473F31D
	v_mov_b32_e32 v30, v158                                    // 00000000AC48: 7E3C039E
	v_mov_b32_e32 v31, v159                                    // 00000000AC4C: 7E3E039F
	v_cmp_u_f32_e64 s[74:75], v30, v30                         // 00000000AC50: D048004A 00023D1E
	v_bfe_u32 v248, v30, 16, 1                                 // 00000000AC58: D1C800F8 0205211E
	v_add3_u32 v248, v30, v248, v251                           // 00000000AC60: D1FF00F8 07EFF11E
	v_cndmask_b32_e64 v28, v248, v250, s[74:75]                // 00000000AC68: D100001C 012BF5F8
	v_lshrrev_b32_e32 v28, 16, v28                             // 00000000AC70: 20383890
	v_cmp_u_f32_e64 s[74:75], v31, v31                         // 00000000AC74: D048004A 00023F1F
	v_bfe_u32 v248, v31, 16, 1                                 // 00000000AC7C: D1C800F8 0205211F
	v_add3_u32 v248, v31, v248, v251                           // 00000000AC84: D1FF00F8 07EFF11F
	v_cndmask_b32_e64 v29, v248, v250, s[74:75]                // 00000000AC8C: D100001D 012BF5F8
	v_and_or_b32 v155, v29, v249, v28                          // 00000000AC94: D201009B 0473F31D
	v_mov_b32_e32 v30, v160                                    // 00000000AC9C: 7E3C03A0
	v_mov_b32_e32 v31, v161                                    // 00000000ACA0: 7E3E03A1
	v_cmp_u_f32_e64 s[74:75], v30, v30                         // 00000000ACA4: D048004A 00023D1E
	v_bfe_u32 v248, v30, 16, 1                                 // 00000000ACAC: D1C800F8 0205211E
	v_add3_u32 v248, v30, v248, v251                           // 00000000ACB4: D1FF00F8 07EFF11E
	v_cndmask_b32_e64 v28, v248, v250, s[74:75]                // 00000000ACBC: D100001C 012BF5F8
	v_lshrrev_b32_e32 v28, 16, v28                             // 00000000ACC4: 20383890
	v_cmp_u_f32_e64 s[74:75], v31, v31                         // 00000000ACC8: D048004A 00023F1F
	v_bfe_u32 v248, v31, 16, 1                                 // 00000000ACD0: D1C800F8 0205211F
	v_add3_u32 v248, v31, v248, v251                           // 00000000ACD8: D1FF00F8 07EFF11F
	v_cndmask_b32_e64 v29, v248, v250, s[74:75]                // 00000000ACE0: D100001D 012BF5F8
	v_and_or_b32 v156, v29, v249, v28                          // 00000000ACE8: D201009C 0473F31D
	v_mov_b32_e32 v30, v162                                    // 00000000ACF0: 7E3C03A2
	v_mov_b32_e32 v31, v163                                    // 00000000ACF4: 7E3E03A3
	v_cmp_u_f32_e64 s[74:75], v30, v30                         // 00000000ACF8: D048004A 00023D1E
	v_bfe_u32 v248, v30, 16, 1                                 // 00000000AD00: D1C800F8 0205211E
	v_add3_u32 v248, v30, v248, v251                           // 00000000AD08: D1FF00F8 07EFF11E
	v_cndmask_b32_e64 v28, v248, v250, s[74:75]                // 00000000AD10: D100001C 012BF5F8
	v_lshrrev_b32_e32 v28, 16, v28                             // 00000000AD18: 20383890
	v_cmp_u_f32_e64 s[74:75], v31, v31                         // 00000000AD1C: D048004A 00023F1F
	v_bfe_u32 v248, v31, 16, 1                                 // 00000000AD24: D1C800F8 0205211F
	v_add3_u32 v248, v31, v248, v251                           // 00000000AD2C: D1FF00F8 07EFF11F
	v_cndmask_b32_e64 v29, v248, v250, s[74:75]                // 00000000AD34: D100001D 012BF5F8
	v_and_or_b32 v157, v29, v249, v28                          // 00000000AD3C: D201009D 0473F31D
	v_mov_b32_e32 v30, v164                                    // 00000000AD44: 7E3C03A4
	v_mov_b32_e32 v31, v165                                    // 00000000AD48: 7E3E03A5
	v_cmp_u_f32_e64 s[74:75], v30, v30                         // 00000000AD4C: D048004A 00023D1E
	v_bfe_u32 v248, v30, 16, 1                                 // 00000000AD54: D1C800F8 0205211E
	v_add3_u32 v248, v30, v248, v251                           // 00000000AD5C: D1FF00F8 07EFF11E
	v_cndmask_b32_e64 v28, v248, v250, s[74:75]                // 00000000AD64: D100001C 012BF5F8
	v_lshrrev_b32_e32 v28, 16, v28                             // 00000000AD6C: 20383890
	v_cmp_u_f32_e64 s[74:75], v31, v31                         // 00000000AD70: D048004A 00023F1F
	v_bfe_u32 v248, v31, 16, 1                                 // 00000000AD78: D1C800F8 0205211F
	v_add3_u32 v248, v31, v248, v251                           // 00000000AD80: D1FF00F8 07EFF11F
	v_cndmask_b32_e64 v29, v248, v250, s[74:75]                // 00000000AD88: D100001D 012BF5F8
	v_and_or_b32 v158, v29, v249, v28                          // 00000000AD90: D201009E 0473F31D
	v_mov_b32_e32 v30, v166                                    // 00000000AD98: 7E3C03A6
	v_mov_b32_e32 v31, v167                                    // 00000000AD9C: 7E3E03A7
	v_cmp_u_f32_e64 s[74:75], v30, v30                         // 00000000ADA0: D048004A 00023D1E
	v_bfe_u32 v248, v30, 16, 1                                 // 00000000ADA8: D1C800F8 0205211E
	v_add3_u32 v248, v30, v248, v251                           // 00000000ADB0: D1FF00F8 07EFF11E
	v_cndmask_b32_e64 v28, v248, v250, s[74:75]                // 00000000ADB8: D100001C 012BF5F8
	v_lshrrev_b32_e32 v28, 16, v28                             // 00000000ADC0: 20383890
	v_cmp_u_f32_e64 s[74:75], v31, v31                         // 00000000ADC4: D048004A 00023F1F
	v_bfe_u32 v248, v31, 16, 1                                 // 00000000ADCC: D1C800F8 0205211F
	v_add3_u32 v248, v31, v248, v251                           // 00000000ADD4: D1FF00F8 07EFF11F
	v_cndmask_b32_e64 v29, v248, v250, s[74:75]                // 00000000ADDC: D100001D 012BF5F8
	v_and_or_b32 v159, v29, v249, v28                          // 00000000ADE4: D201009F 0473F31D
	v_mov_b32_e32 v30, v168                                    // 00000000ADEC: 7E3C03A8
	v_mov_b32_e32 v31, v169                                    // 00000000ADF0: 7E3E03A9
	v_cmp_u_f32_e64 s[74:75], v30, v30                         // 00000000ADF4: D048004A 00023D1E
	v_bfe_u32 v248, v30, 16, 1                                 // 00000000ADFC: D1C800F8 0205211E
	v_add3_u32 v248, v30, v248, v251                           // 00000000AE04: D1FF00F8 07EFF11E
	v_cndmask_b32_e64 v28, v248, v250, s[74:75]                // 00000000AE0C: D100001C 012BF5F8
	v_lshrrev_b32_e32 v28, 16, v28                             // 00000000AE14: 20383890
	v_cmp_u_f32_e64 s[74:75], v31, v31                         // 00000000AE18: D048004A 00023F1F
	v_bfe_u32 v248, v31, 16, 1                                 // 00000000AE20: D1C800F8 0205211F
	v_add3_u32 v248, v31, v248, v251                           // 00000000AE28: D1FF00F8 07EFF11F
	v_cndmask_b32_e64 v29, v248, v250, s[74:75]                // 00000000AE30: D100001D 012BF5F8
	v_and_or_b32 v160, v29, v249, v28                          // 00000000AE38: D20100A0 0473F31D
	v_mov_b32_e32 v30, v170                                    // 00000000AE40: 7E3C03AA
	v_mov_b32_e32 v31, v171                                    // 00000000AE44: 7E3E03AB
	v_cmp_u_f32_e64 s[74:75], v30, v30                         // 00000000AE48: D048004A 00023D1E
	v_bfe_u32 v248, v30, 16, 1                                 // 00000000AE50: D1C800F8 0205211E
	v_add3_u32 v248, v30, v248, v251                           // 00000000AE58: D1FF00F8 07EFF11E
	v_cndmask_b32_e64 v28, v248, v250, s[74:75]                // 00000000AE60: D100001C 012BF5F8
	v_lshrrev_b32_e32 v28, 16, v28                             // 00000000AE68: 20383890
	v_cmp_u_f32_e64 s[74:75], v31, v31                         // 00000000AE6C: D048004A 00023F1F
	v_bfe_u32 v248, v31, 16, 1                                 // 00000000AE74: D1C800F8 0205211F
	v_add3_u32 v248, v31, v248, v251                           // 00000000AE7C: D1FF00F8 07EFF11F
	v_cndmask_b32_e64 v29, v248, v250, s[74:75]                // 00000000AE84: D100001D 012BF5F8
	v_and_or_b32 v161, v29, v249, v28                          // 00000000AE8C: D20100A1 0473F31D
	v_mov_b32_e32 v30, v172                                    // 00000000AE94: 7E3C03AC
	v_mov_b32_e32 v31, v173                                    // 00000000AE98: 7E3E03AD
	v_cmp_u_f32_e64 s[74:75], v30, v30                         // 00000000AE9C: D048004A 00023D1E
	v_bfe_u32 v248, v30, 16, 1                                 // 00000000AEA4: D1C800F8 0205211E
	v_add3_u32 v248, v30, v248, v251                           // 00000000AEAC: D1FF00F8 07EFF11E
	v_cndmask_b32_e64 v28, v248, v250, s[74:75]                // 00000000AEB4: D100001C 012BF5F8
	v_lshrrev_b32_e32 v28, 16, v28                             // 00000000AEBC: 20383890
	v_cmp_u_f32_e64 s[74:75], v31, v31                         // 00000000AEC0: D048004A 00023F1F
	v_bfe_u32 v248, v31, 16, 1                                 // 00000000AEC8: D1C800F8 0205211F
	v_add3_u32 v248, v31, v248, v251                           // 00000000AED0: D1FF00F8 07EFF11F
	v_cndmask_b32_e64 v29, v248, v250, s[74:75]                // 00000000AED8: D100001D 012BF5F8
	v_and_or_b32 v162, v29, v249, v28                          // 00000000AEE0: D20100A2 0473F31D
	v_mov_b32_e32 v30, v174                                    // 00000000AEE8: 7E3C03AE
	v_mov_b32_e32 v31, v175                                    // 00000000AEEC: 7E3E03AF
	v_cmp_u_f32_e64 s[74:75], v30, v30                         // 00000000AEF0: D048004A 00023D1E
	v_bfe_u32 v248, v30, 16, 1                                 // 00000000AEF8: D1C800F8 0205211E
	v_add3_u32 v248, v30, v248, v251                           // 00000000AF00: D1FF00F8 07EFF11E
	v_cndmask_b32_e64 v28, v248, v250, s[74:75]                // 00000000AF08: D100001C 012BF5F8
	v_lshrrev_b32_e32 v28, 16, v28                             // 00000000AF10: 20383890
	v_cmp_u_f32_e64 s[74:75], v31, v31                         // 00000000AF14: D048004A 00023F1F
	v_bfe_u32 v248, v31, 16, 1                                 // 00000000AF1C: D1C800F8 0205211F
	v_add3_u32 v248, v31, v248, v251                           // 00000000AF24: D1FF00F8 07EFF11F
	v_cndmask_b32_e64 v29, v248, v250, s[74:75]                // 00000000AF2C: D100001D 012BF5F8
	v_and_or_b32 v163, v29, v249, v28                          // 00000000AF34: D20100A3 0473F31D
	v_mov_b32_e32 v30, v176                                    // 00000000AF3C: 7E3C03B0
	v_mov_b32_e32 v31, v177                                    // 00000000AF40: 7E3E03B1
	v_cmp_u_f32_e64 s[74:75], v30, v30                         // 00000000AF44: D048004A 00023D1E
	v_bfe_u32 v248, v30, 16, 1                                 // 00000000AF4C: D1C800F8 0205211E
	v_add3_u32 v248, v30, v248, v251                           // 00000000AF54: D1FF00F8 07EFF11E
	v_cndmask_b32_e64 v28, v248, v250, s[74:75]                // 00000000AF5C: D100001C 012BF5F8
	v_lshrrev_b32_e32 v28, 16, v28                             // 00000000AF64: 20383890
	v_cmp_u_f32_e64 s[74:75], v31, v31                         // 00000000AF68: D048004A 00023F1F
	v_bfe_u32 v248, v31, 16, 1                                 // 00000000AF70: D1C800F8 0205211F
	v_add3_u32 v248, v31, v248, v251                           // 00000000AF78: D1FF00F8 07EFF11F
	v_cndmask_b32_e64 v29, v248, v250, s[74:75]                // 00000000AF80: D100001D 012BF5F8
	v_and_or_b32 v164, v29, v249, v28                          // 00000000AF88: D20100A4 0473F31D
	v_mov_b32_e32 v30, v178                                    // 00000000AF90: 7E3C03B2
	v_mov_b32_e32 v31, v179                                    // 00000000AF94: 7E3E03B3
	v_cmp_u_f32_e64 s[74:75], v30, v30                         // 00000000AF98: D048004A 00023D1E
	v_bfe_u32 v248, v30, 16, 1                                 // 00000000AFA0: D1C800F8 0205211E
	v_add3_u32 v248, v30, v248, v251                           // 00000000AFA8: D1FF00F8 07EFF11E
	v_cndmask_b32_e64 v28, v248, v250, s[74:75]                // 00000000AFB0: D100001C 012BF5F8
	v_lshrrev_b32_e32 v28, 16, v28                             // 00000000AFB8: 20383890
	v_cmp_u_f32_e64 s[74:75], v31, v31                         // 00000000AFBC: D048004A 00023F1F
	v_bfe_u32 v248, v31, 16, 1                                 // 00000000AFC4: D1C800F8 0205211F
	v_add3_u32 v248, v31, v248, v251                           // 00000000AFCC: D1FF00F8 07EFF11F
	v_cndmask_b32_e64 v29, v248, v250, s[74:75]                // 00000000AFD4: D100001D 012BF5F8
	v_and_or_b32 v165, v29, v249, v28                          // 00000000AFDC: D20100A5 0473F31D
	v_mov_b32_e32 v30, v180                                    // 00000000AFE4: 7E3C03B4
	v_mov_b32_e32 v31, v181                                    // 00000000AFE8: 7E3E03B5
	v_cmp_u_f32_e64 s[74:75], v30, v30                         // 00000000AFEC: D048004A 00023D1E
	v_bfe_u32 v248, v30, 16, 1                                 // 00000000AFF4: D1C800F8 0205211E
	v_add3_u32 v248, v30, v248, v251                           // 00000000AFFC: D1FF00F8 07EFF11E
	v_cndmask_b32_e64 v28, v248, v250, s[74:75]                // 00000000B004: D100001C 012BF5F8
	v_lshrrev_b32_e32 v28, 16, v28                             // 00000000B00C: 20383890
	v_cmp_u_f32_e64 s[74:75], v31, v31                         // 00000000B010: D048004A 00023F1F
	v_bfe_u32 v248, v31, 16, 1                                 // 00000000B018: D1C800F8 0205211F
	v_add3_u32 v248, v31, v248, v251                           // 00000000B020: D1FF00F8 07EFF11F
	v_cndmask_b32_e64 v29, v248, v250, s[74:75]                // 00000000B028: D100001D 012BF5F8
	v_and_or_b32 v166, v29, v249, v28                          // 00000000B030: D20100A6 0473F31D
	v_mov_b32_e32 v30, v182                                    // 00000000B038: 7E3C03B6
	v_mov_b32_e32 v31, v183                                    // 00000000B03C: 7E3E03B7
	v_cmp_u_f32_e64 s[74:75], v30, v30                         // 00000000B040: D048004A 00023D1E
	v_bfe_u32 v248, v30, 16, 1                                 // 00000000B048: D1C800F8 0205211E
	v_add3_u32 v248, v30, v248, v251                           // 00000000B050: D1FF00F8 07EFF11E
	v_cndmask_b32_e64 v28, v248, v250, s[74:75]                // 00000000B058: D100001C 012BF5F8
	v_lshrrev_b32_e32 v28, 16, v28                             // 00000000B060: 20383890
	v_cmp_u_f32_e64 s[74:75], v31, v31                         // 00000000B064: D048004A 00023F1F
	v_bfe_u32 v248, v31, 16, 1                                 // 00000000B06C: D1C800F8 0205211F
	v_add3_u32 v248, v31, v248, v251                           // 00000000B074: D1FF00F8 07EFF11F
	v_cndmask_b32_e64 v29, v248, v250, s[74:75]                // 00000000B07C: D100001D 012BF5F8
	v_and_or_b32 v167, v29, v249, v28                          // 00000000B084: D20100A7 0473F31D
	ds_write_b64 v27, v[152:153]                               // 00000000B08C: D89A0000 0000981B
	ds_write_b64 v27, v[154:155] offset:528                    // 00000000B094: D89A0210 00009A1B
	ds_write_b64 v27, v[156:157] offset:1056                   // 00000000B09C: D89A0420 00009C1B
	ds_write_b64 v27, v[158:159] offset:1584                   // 00000000B0A4: D89A0630 00009E1B
	ds_write_b64 v27, v[160:161] offset:2112                   // 00000000B0AC: D89A0840 0000A01B
	ds_write_b64 v27, v[162:163] offset:2640                   // 00000000B0B4: D89A0A50 0000A21B
	ds_write_b64 v27, v[164:165] offset:3168                   // 00000000B0BC: D89A0C60 0000A41B
	ds_write_b64 v27, v[166:167] offset:3696                   // 00000000B0C4: D89A0E70 0000A61B
	s_waitcnt lgkmcnt(0)                                       // 00000000B0CC: BF8CC07F
	s_barrier                                                  // 00000000B0D0: BF8A0000
	ds_read_b64 v[152:153], v26                                // 00000000B0D4: D8EC0000 9800001A
	ds_read_b64 v[154:155], v26 offset:128                     // 00000000B0DC: D8EC0080 9A00001A
	ds_read_b64 v[156:157], v26 offset:32                      // 00000000B0E4: D8EC0020 9C00001A
	ds_read_b64 v[158:159], v26 offset:160                     // 00000000B0EC: D8EC00A0 9E00001A
	ds_read_b64 v[160:161], v26 offset:64                      // 00000000B0F4: D8EC0040 A000001A
	ds_read_b64 v[162:163], v26 offset:192                     // 00000000B0FC: D8EC00C0 A200001A
	ds_read_b64 v[164:165], v26 offset:96                      // 00000000B104: D8EC0060 A400001A
	ds_read_b64 v[166:167], v26 offset:224                     // 00000000B10C: D8EC00E0 A600001A
	s_waitcnt lgkmcnt(0)                                       // 00000000B114: BF8CC07F
	s_mov_b64 exec, s[90:91]                                   // 00000000B118: BEFE015A
	buffer_store_dwordx4 v[152:155], v10, s[40:43], 0 idxen    // 00000000B11C: E07C2000 800A980A
	s_mov_b64 exec, s[86:87]                                   // 00000000B124: BEFE0156
	v_add_u32_e32 v10, s46, v10                                // 00000000B128: 6814142E
	s_mov_b64 exec, s[90:91]                                   // 00000000B12C: BEFE015A
	buffer_store_dwordx4 v[156:159], v10, s[40:43], 0 idxen    // 00000000B130: E07C2000 800A9C0A
	s_mov_b64 exec, s[86:87]                                   // 00000000B138: BEFE0156
	v_add_u32_e32 v10, s46, v10                                // 00000000B13C: 6814142E
	s_mov_b64 exec, s[90:91]                                   // 00000000B140: BEFE015A
	buffer_store_dwordx4 v[160:163], v10, s[40:43], 0 idxen    // 00000000B144: E07C2000 800AA00A
	s_mov_b64 exec, s[86:87]                                   // 00000000B14C: BEFE0156
	v_add_u32_e32 v10, s46, v10                                // 00000000B150: 6814142E
	s_mov_b64 exec, s[90:91]                                   // 00000000B154: BEFE015A
	buffer_store_dwordx4 v[164:167], v10, s[40:43], 0 idxen    // 00000000B158: E07C2000 800AA40A
	s_mov_b64 exec, s[86:87]                                   // 00000000B160: BEFE0156
	v_add_u32_e32 v10, s46, v10                                // 00000000B164: 6814142E
	s_mul_i32 s60, 12, s46                                     // 00000000B168: 923C2E8C
	v_add_u32_e32 v10, s60, v10                                // 00000000B16C: 6814143C
	s_cmp_ge_i32 1, s73                                        // 00000000B170: BF034981
	s_cbranch_scc1 label_1FF4                                  // 00000000B174: BF850316
	v_mov_b32_e32 v30, v184                                    // 00000000B178: 7E3C03B8
	v_mov_b32_e32 v31, v185                                    // 00000000B17C: 7E3E03B9
	v_cmp_u_f32_e64 s[74:75], v30, v30                         // 00000000B180: D048004A 00023D1E
	v_bfe_u32 v248, v30, 16, 1                                 // 00000000B188: D1C800F8 0205211E
	v_add3_u32 v248, v30, v248, v251                           // 00000000B190: D1FF00F8 07EFF11E
	v_cndmask_b32_e64 v28, v248, v250, s[74:75]                // 00000000B198: D100001C 012BF5F8
	v_lshrrev_b32_e32 v28, 16, v28                             // 00000000B1A0: 20383890
	v_cmp_u_f32_e64 s[74:75], v31, v31                         // 00000000B1A4: D048004A 00023F1F
	v_bfe_u32 v248, v31, 16, 1                                 // 00000000B1AC: D1C800F8 0205211F
	v_add3_u32 v248, v31, v248, v251                           // 00000000B1B4: D1FF00F8 07EFF11F
	v_cndmask_b32_e64 v29, v248, v250, s[74:75]                // 00000000B1BC: D100001D 012BF5F8
	v_and_or_b32 v168, v29, v249, v28                          // 00000000B1C4: D20100A8 0473F31D
	v_mov_b32_e32 v30, v186                                    // 00000000B1CC: 7E3C03BA
	v_mov_b32_e32 v31, v187                                    // 00000000B1D0: 7E3E03BB
	v_cmp_u_f32_e64 s[74:75], v30, v30                         // 00000000B1D4: D048004A 00023D1E
	v_bfe_u32 v248, v30, 16, 1                                 // 00000000B1DC: D1C800F8 0205211E
	v_add3_u32 v248, v30, v248, v251                           // 00000000B1E4: D1FF00F8 07EFF11E
	v_cndmask_b32_e64 v28, v248, v250, s[74:75]                // 00000000B1EC: D100001C 012BF5F8
	v_lshrrev_b32_e32 v28, 16, v28                             // 00000000B1F4: 20383890
	v_cmp_u_f32_e64 s[74:75], v31, v31                         // 00000000B1F8: D048004A 00023F1F
	v_bfe_u32 v248, v31, 16, 1                                 // 00000000B200: D1C800F8 0205211F
	v_add3_u32 v248, v31, v248, v251                           // 00000000B208: D1FF00F8 07EFF11F
	v_cndmask_b32_e64 v29, v248, v250, s[74:75]                // 00000000B210: D100001D 012BF5F8
	v_and_or_b32 v169, v29, v249, v28                          // 00000000B218: D20100A9 0473F31D
	v_mov_b32_e32 v30, v188                                    // 00000000B220: 7E3C03BC
	v_mov_b32_e32 v31, v189                                    // 00000000B224: 7E3E03BD
	v_cmp_u_f32_e64 s[74:75], v30, v30                         // 00000000B228: D048004A 00023D1E
	v_bfe_u32 v248, v30, 16, 1                                 // 00000000B230: D1C800F8 0205211E
	v_add3_u32 v248, v30, v248, v251                           // 00000000B238: D1FF00F8 07EFF11E
	v_cndmask_b32_e64 v28, v248, v250, s[74:75]                // 00000000B240: D100001C 012BF5F8
	v_lshrrev_b32_e32 v28, 16, v28                             // 00000000B248: 20383890
	v_cmp_u_f32_e64 s[74:75], v31, v31                         // 00000000B24C: D048004A 00023F1F
	v_bfe_u32 v248, v31, 16, 1                                 // 00000000B254: D1C800F8 0205211F
	v_add3_u32 v248, v31, v248, v251                           // 00000000B25C: D1FF00F8 07EFF11F
	v_cndmask_b32_e64 v29, v248, v250, s[74:75]                // 00000000B264: D100001D 012BF5F8
	v_and_or_b32 v170, v29, v249, v28                          // 00000000B26C: D20100AA 0473F31D
	v_mov_b32_e32 v30, v190                                    // 00000000B274: 7E3C03BE
	v_mov_b32_e32 v31, v191                                    // 00000000B278: 7E3E03BF
	v_cmp_u_f32_e64 s[74:75], v30, v30                         // 00000000B27C: D048004A 00023D1E
	v_bfe_u32 v248, v30, 16, 1                                 // 00000000B284: D1C800F8 0205211E
	v_add3_u32 v248, v30, v248, v251                           // 00000000B28C: D1FF00F8 07EFF11E
	v_cndmask_b32_e64 v28, v248, v250, s[74:75]                // 00000000B294: D100001C 012BF5F8
	v_lshrrev_b32_e32 v28, 16, v28                             // 00000000B29C: 20383890
	v_cmp_u_f32_e64 s[74:75], v31, v31                         // 00000000B2A0: D048004A 00023F1F
	v_bfe_u32 v248, v31, 16, 1                                 // 00000000B2A8: D1C800F8 0205211F
	v_add3_u32 v248, v31, v248, v251                           // 00000000B2B0: D1FF00F8 07EFF11F
	v_cndmask_b32_e64 v29, v248, v250, s[74:75]                // 00000000B2B8: D100001D 012BF5F8
	v_and_or_b32 v171, v29, v249, v28                          // 00000000B2C0: D20100AB 0473F31D
	v_mov_b32_e32 v30, v192                                    // 00000000B2C8: 7E3C03C0
	v_mov_b32_e32 v31, v193                                    // 00000000B2CC: 7E3E03C1
	v_cmp_u_f32_e64 s[74:75], v30, v30                         // 00000000B2D0: D048004A 00023D1E
	v_bfe_u32 v248, v30, 16, 1                                 // 00000000B2D8: D1C800F8 0205211E
	v_add3_u32 v248, v30, v248, v251                           // 00000000B2E0: D1FF00F8 07EFF11E
	v_cndmask_b32_e64 v28, v248, v250, s[74:75]                // 00000000B2E8: D100001C 012BF5F8
	v_lshrrev_b32_e32 v28, 16, v28                             // 00000000B2F0: 20383890
	v_cmp_u_f32_e64 s[74:75], v31, v31                         // 00000000B2F4: D048004A 00023F1F
	v_bfe_u32 v248, v31, 16, 1                                 // 00000000B2FC: D1C800F8 0205211F
	v_add3_u32 v248, v31, v248, v251                           // 00000000B304: D1FF00F8 07EFF11F
	v_cndmask_b32_e64 v29, v248, v250, s[74:75]                // 00000000B30C: D100001D 012BF5F8
	v_and_or_b32 v172, v29, v249, v28                          // 00000000B314: D20100AC 0473F31D
	v_mov_b32_e32 v30, v194                                    // 00000000B31C: 7E3C03C2
	v_mov_b32_e32 v31, v195                                    // 00000000B320: 7E3E03C3
	v_cmp_u_f32_e64 s[74:75], v30, v30                         // 00000000B324: D048004A 00023D1E
	v_bfe_u32 v248, v30, 16, 1                                 // 00000000B32C: D1C800F8 0205211E
	v_add3_u32 v248, v30, v248, v251                           // 00000000B334: D1FF00F8 07EFF11E
	v_cndmask_b32_e64 v28, v248, v250, s[74:75]                // 00000000B33C: D100001C 012BF5F8
	v_lshrrev_b32_e32 v28, 16, v28                             // 00000000B344: 20383890
	v_cmp_u_f32_e64 s[74:75], v31, v31                         // 00000000B348: D048004A 00023F1F
	v_bfe_u32 v248, v31, 16, 1                                 // 00000000B350: D1C800F8 0205211F
	v_add3_u32 v248, v31, v248, v251                           // 00000000B358: D1FF00F8 07EFF11F
	v_cndmask_b32_e64 v29, v248, v250, s[74:75]                // 00000000B360: D100001D 012BF5F8
	v_and_or_b32 v173, v29, v249, v28                          // 00000000B368: D20100AD 0473F31D
	v_mov_b32_e32 v30, v196                                    // 00000000B370: 7E3C03C4
	v_mov_b32_e32 v31, v197                                    // 00000000B374: 7E3E03C5
	v_cmp_u_f32_e64 s[74:75], v30, v30                         // 00000000B378: D048004A 00023D1E
	v_bfe_u32 v248, v30, 16, 1                                 // 00000000B380: D1C800F8 0205211E
	v_add3_u32 v248, v30, v248, v251                           // 00000000B388: D1FF00F8 07EFF11E
	v_cndmask_b32_e64 v28, v248, v250, s[74:75]                // 00000000B390: D100001C 012BF5F8
	v_lshrrev_b32_e32 v28, 16, v28                             // 00000000B398: 20383890
	v_cmp_u_f32_e64 s[74:75], v31, v31                         // 00000000B39C: D048004A 00023F1F
	v_bfe_u32 v248, v31, 16, 1                                 // 00000000B3A4: D1C800F8 0205211F
	v_add3_u32 v248, v31, v248, v251                           // 00000000B3AC: D1FF00F8 07EFF11F
	v_cndmask_b32_e64 v29, v248, v250, s[74:75]                // 00000000B3B4: D100001D 012BF5F8
	v_and_or_b32 v174, v29, v249, v28                          // 00000000B3BC: D20100AE 0473F31D
	v_mov_b32_e32 v30, v198                                    // 00000000B3C4: 7E3C03C6
	v_mov_b32_e32 v31, v199                                    // 00000000B3C8: 7E3E03C7
	v_cmp_u_f32_e64 s[74:75], v30, v30                         // 00000000B3CC: D048004A 00023D1E
	v_bfe_u32 v248, v30, 16, 1                                 // 00000000B3D4: D1C800F8 0205211E
	v_add3_u32 v248, v30, v248, v251                           // 00000000B3DC: D1FF00F8 07EFF11E
	v_cndmask_b32_e64 v28, v248, v250, s[74:75]                // 00000000B3E4: D100001C 012BF5F8
	v_lshrrev_b32_e32 v28, 16, v28                             // 00000000B3EC: 20383890
	v_cmp_u_f32_e64 s[74:75], v31, v31                         // 00000000B3F0: D048004A 00023F1F
	v_bfe_u32 v248, v31, 16, 1                                 // 00000000B3F8: D1C800F8 0205211F
	v_add3_u32 v248, v31, v248, v251                           // 00000000B400: D1FF00F8 07EFF11F
	v_cndmask_b32_e64 v29, v248, v250, s[74:75]                // 00000000B408: D100001D 012BF5F8
	v_and_or_b32 v175, v29, v249, v28                          // 00000000B410: D20100AF 0473F31D
	v_mov_b32_e32 v30, v200                                    // 00000000B418: 7E3C03C8
	v_mov_b32_e32 v31, v201                                    // 00000000B41C: 7E3E03C9
	v_cmp_u_f32_e64 s[74:75], v30, v30                         // 00000000B420: D048004A 00023D1E
	v_bfe_u32 v248, v30, 16, 1                                 // 00000000B428: D1C800F8 0205211E
	v_add3_u32 v248, v30, v248, v251                           // 00000000B430: D1FF00F8 07EFF11E
	v_cndmask_b32_e64 v28, v248, v250, s[74:75]                // 00000000B438: D100001C 012BF5F8
	v_lshrrev_b32_e32 v28, 16, v28                             // 00000000B440: 20383890
	v_cmp_u_f32_e64 s[74:75], v31, v31                         // 00000000B444: D048004A 00023F1F
	v_bfe_u32 v248, v31, 16, 1                                 // 00000000B44C: D1C800F8 0205211F
	v_add3_u32 v248, v31, v248, v251                           // 00000000B454: D1FF00F8 07EFF11F
	v_cndmask_b32_e64 v29, v248, v250, s[74:75]                // 00000000B45C: D100001D 012BF5F8
	v_and_or_b32 v176, v29, v249, v28                          // 00000000B464: D20100B0 0473F31D
	v_mov_b32_e32 v30, v202                                    // 00000000B46C: 7E3C03CA
	v_mov_b32_e32 v31, v203                                    // 00000000B470: 7E3E03CB
	v_cmp_u_f32_e64 s[74:75], v30, v30                         // 00000000B474: D048004A 00023D1E
	v_bfe_u32 v248, v30, 16, 1                                 // 00000000B47C: D1C800F8 0205211E
	v_add3_u32 v248, v30, v248, v251                           // 00000000B484: D1FF00F8 07EFF11E
	v_cndmask_b32_e64 v28, v248, v250, s[74:75]                // 00000000B48C: D100001C 012BF5F8
	v_lshrrev_b32_e32 v28, 16, v28                             // 00000000B494: 20383890
	v_cmp_u_f32_e64 s[74:75], v31, v31                         // 00000000B498: D048004A 00023F1F
	v_bfe_u32 v248, v31, 16, 1                                 // 00000000B4A0: D1C800F8 0205211F
	v_add3_u32 v248, v31, v248, v251                           // 00000000B4A8: D1FF00F8 07EFF11F
	v_cndmask_b32_e64 v29, v248, v250, s[74:75]                // 00000000B4B0: D100001D 012BF5F8
	v_and_or_b32 v177, v29, v249, v28                          // 00000000B4B8: D20100B1 0473F31D
	v_mov_b32_e32 v30, v204                                    // 00000000B4C0: 7E3C03CC
	v_mov_b32_e32 v31, v205                                    // 00000000B4C4: 7E3E03CD
	v_cmp_u_f32_e64 s[74:75], v30, v30                         // 00000000B4C8: D048004A 00023D1E
	v_bfe_u32 v248, v30, 16, 1                                 // 00000000B4D0: D1C800F8 0205211E
	v_add3_u32 v248, v30, v248, v251                           // 00000000B4D8: D1FF00F8 07EFF11E
	v_cndmask_b32_e64 v28, v248, v250, s[74:75]                // 00000000B4E0: D100001C 012BF5F8
	v_lshrrev_b32_e32 v28, 16, v28                             // 00000000B4E8: 20383890
	v_cmp_u_f32_e64 s[74:75], v31, v31                         // 00000000B4EC: D048004A 00023F1F
	v_bfe_u32 v248, v31, 16, 1                                 // 00000000B4F4: D1C800F8 0205211F
	v_add3_u32 v248, v31, v248, v251                           // 00000000B4FC: D1FF00F8 07EFF11F
	v_cndmask_b32_e64 v29, v248, v250, s[74:75]                // 00000000B504: D100001D 012BF5F8
	v_and_or_b32 v178, v29, v249, v28                          // 00000000B50C: D20100B2 0473F31D
	v_mov_b32_e32 v30, v206                                    // 00000000B514: 7E3C03CE
	v_mov_b32_e32 v31, v207                                    // 00000000B518: 7E3E03CF
	v_cmp_u_f32_e64 s[74:75], v30, v30                         // 00000000B51C: D048004A 00023D1E
	v_bfe_u32 v248, v30, 16, 1                                 // 00000000B524: D1C800F8 0205211E
	v_add3_u32 v248, v30, v248, v251                           // 00000000B52C: D1FF00F8 07EFF11E
	v_cndmask_b32_e64 v28, v248, v250, s[74:75]                // 00000000B534: D100001C 012BF5F8
	v_lshrrev_b32_e32 v28, 16, v28                             // 00000000B53C: 20383890
	v_cmp_u_f32_e64 s[74:75], v31, v31                         // 00000000B540: D048004A 00023F1F
	v_bfe_u32 v248, v31, 16, 1                                 // 00000000B548: D1C800F8 0205211F
	v_add3_u32 v248, v31, v248, v251                           // 00000000B550: D1FF00F8 07EFF11F
	v_cndmask_b32_e64 v29, v248, v250, s[74:75]                // 00000000B558: D100001D 012BF5F8
	v_and_or_b32 v179, v29, v249, v28                          // 00000000B560: D20100B3 0473F31D
	v_mov_b32_e32 v30, v208                                    // 00000000B568: 7E3C03D0
	v_mov_b32_e32 v31, v209                                    // 00000000B56C: 7E3E03D1
	v_cmp_u_f32_e64 s[74:75], v30, v30                         // 00000000B570: D048004A 00023D1E
	v_bfe_u32 v248, v30, 16, 1                                 // 00000000B578: D1C800F8 0205211E
	v_add3_u32 v248, v30, v248, v251                           // 00000000B580: D1FF00F8 07EFF11E
	v_cndmask_b32_e64 v28, v248, v250, s[74:75]                // 00000000B588: D100001C 012BF5F8
	v_lshrrev_b32_e32 v28, 16, v28                             // 00000000B590: 20383890
	v_cmp_u_f32_e64 s[74:75], v31, v31                         // 00000000B594: D048004A 00023F1F
	v_bfe_u32 v248, v31, 16, 1                                 // 00000000B59C: D1C800F8 0205211F
	v_add3_u32 v248, v31, v248, v251                           // 00000000B5A4: D1FF00F8 07EFF11F
	v_cndmask_b32_e64 v29, v248, v250, s[74:75]                // 00000000B5AC: D100001D 012BF5F8
	v_and_or_b32 v180, v29, v249, v28                          // 00000000B5B4: D20100B4 0473F31D
	v_mov_b32_e32 v30, v210                                    // 00000000B5BC: 7E3C03D2
	v_mov_b32_e32 v31, v211                                    // 00000000B5C0: 7E3E03D3
	v_cmp_u_f32_e64 s[74:75], v30, v30                         // 00000000B5C4: D048004A 00023D1E
	v_bfe_u32 v248, v30, 16, 1                                 // 00000000B5CC: D1C800F8 0205211E
	v_add3_u32 v248, v30, v248, v251                           // 00000000B5D4: D1FF00F8 07EFF11E
	v_cndmask_b32_e64 v28, v248, v250, s[74:75]                // 00000000B5DC: D100001C 012BF5F8
	v_lshrrev_b32_e32 v28, 16, v28                             // 00000000B5E4: 20383890
	v_cmp_u_f32_e64 s[74:75], v31, v31                         // 00000000B5E8: D048004A 00023F1F
	v_bfe_u32 v248, v31, 16, 1                                 // 00000000B5F0: D1C800F8 0205211F
	v_add3_u32 v248, v31, v248, v251                           // 00000000B5F8: D1FF00F8 07EFF11F
	v_cndmask_b32_e64 v29, v248, v250, s[74:75]                // 00000000B600: D100001D 012BF5F8
	v_and_or_b32 v181, v29, v249, v28                          // 00000000B608: D20100B5 0473F31D
	v_mov_b32_e32 v30, v212                                    // 00000000B610: 7E3C03D4
	v_mov_b32_e32 v31, v213                                    // 00000000B614: 7E3E03D5
	v_cmp_u_f32_e64 s[74:75], v30, v30                         // 00000000B618: D048004A 00023D1E
	v_bfe_u32 v248, v30, 16, 1                                 // 00000000B620: D1C800F8 0205211E
	v_add3_u32 v248, v30, v248, v251                           // 00000000B628: D1FF00F8 07EFF11E
	v_cndmask_b32_e64 v28, v248, v250, s[74:75]                // 00000000B630: D100001C 012BF5F8
	v_lshrrev_b32_e32 v28, 16, v28                             // 00000000B638: 20383890
	v_cmp_u_f32_e64 s[74:75], v31, v31                         // 00000000B63C: D048004A 00023F1F
	v_bfe_u32 v248, v31, 16, 1                                 // 00000000B644: D1C800F8 0205211F
	v_add3_u32 v248, v31, v248, v251                           // 00000000B64C: D1FF00F8 07EFF11F
	v_cndmask_b32_e64 v29, v248, v250, s[74:75]                // 00000000B654: D100001D 012BF5F8
	v_and_or_b32 v182, v29, v249, v28                          // 00000000B65C: D20100B6 0473F31D
	v_mov_b32_e32 v30, v214                                    // 00000000B664: 7E3C03D6
	v_mov_b32_e32 v31, v215                                    // 00000000B668: 7E3E03D7
	v_cmp_u_f32_e64 s[74:75], v30, v30                         // 00000000B66C: D048004A 00023D1E
	v_bfe_u32 v248, v30, 16, 1                                 // 00000000B674: D1C800F8 0205211E
	v_add3_u32 v248, v30, v248, v251                           // 00000000B67C: D1FF00F8 07EFF11E
	v_cndmask_b32_e64 v28, v248, v250, s[74:75]                // 00000000B684: D100001C 012BF5F8
	v_lshrrev_b32_e32 v28, 16, v28                             // 00000000B68C: 20383890
	v_cmp_u_f32_e64 s[74:75], v31, v31                         // 00000000B690: D048004A 00023F1F
	v_bfe_u32 v248, v31, 16, 1                                 // 00000000B698: D1C800F8 0205211F
	v_add3_u32 v248, v31, v248, v251                           // 00000000B6A0: D1FF00F8 07EFF11F
	v_cndmask_b32_e64 v29, v248, v250, s[74:75]                // 00000000B6A8: D100001D 012BF5F8
	v_and_or_b32 v183, v29, v249, v28                          // 00000000B6B0: D20100B7 0473F31D
	ds_write_b64 v27, v[168:169] offset:16896                  // 00000000B6B8: D89A4200 0000A81B
	ds_write_b64 v27, v[170:171] offset:17424                  // 00000000B6C0: D89A4410 0000AA1B
	ds_write_b64 v27, v[172:173] offset:17952                  // 00000000B6C8: D89A4620 0000AC1B
	ds_write_b64 v27, v[174:175] offset:18480                  // 00000000B6D0: D89A4830 0000AE1B
	ds_write_b64 v27, v[176:177] offset:19008                  // 00000000B6D8: D89A4A40 0000B01B
	ds_write_b64 v27, v[178:179] offset:19536                  // 00000000B6E0: D89A4C50 0000B21B
	ds_write_b64 v27, v[180:181] offset:20064                  // 00000000B6E8: D89A4E60 0000B41B
	ds_write_b64 v27, v[182:183] offset:20592                  // 00000000B6F0: D89A5070 0000B61B
	s_waitcnt lgkmcnt(0)                                       // 00000000B6F8: BF8CC07F
	s_barrier                                                  // 00000000B6FC: BF8A0000
	ds_read_b64 v[168:169], v26 offset:16896                   // 00000000B700: D8EC4200 A800001A
	ds_read_b64 v[170:171], v26 offset:17024                   // 00000000B708: D8EC4280 AA00001A
	ds_read_b64 v[172:173], v26 offset:16928                   // 00000000B710: D8EC4220 AC00001A
	ds_read_b64 v[174:175], v26 offset:17056                   // 00000000B718: D8EC42A0 AE00001A
	ds_read_b64 v[176:177], v26 offset:16960                   // 00000000B720: D8EC4240 B000001A
	ds_read_b64 v[178:179], v26 offset:17088                   // 00000000B728: D8EC42C0 B200001A
	ds_read_b64 v[180:181], v26 offset:16992                   // 00000000B730: D8EC4260 B400001A
	ds_read_b64 v[182:183], v26 offset:17120                   // 00000000B738: D8EC42E0 B600001A
	s_waitcnt lgkmcnt(0)                                       // 00000000B740: BF8CC07F
	s_mov_b64 exec, s[90:91]                                   // 00000000B744: BEFE015A
	buffer_store_dwordx4 v[168:171], v10, s[40:43], 0 idxen    // 00000000B748: E07C2000 800AA80A
	s_mov_b64 exec, s[86:87]                                   // 00000000B750: BEFE0156
	v_add_u32_e32 v10, s46, v10                                // 00000000B754: 6814142E
	s_mov_b64 exec, s[90:91]                                   // 00000000B758: BEFE015A
	buffer_store_dwordx4 v[172:175], v10, s[40:43], 0 idxen    // 00000000B75C: E07C2000 800AAC0A
	s_mov_b64 exec, s[86:87]                                   // 00000000B764: BEFE0156
	v_add_u32_e32 v10, s46, v10                                // 00000000B768: 6814142E
	s_mov_b64 exec, s[90:91]                                   // 00000000B76C: BEFE015A
	buffer_store_dwordx4 v[176:179], v10, s[40:43], 0 idxen    // 00000000B770: E07C2000 800AB00A
	s_mov_b64 exec, s[86:87]                                   // 00000000B778: BEFE0156
	v_add_u32_e32 v10, s46, v10                                // 00000000B77C: 6814142E
	s_mov_b64 exec, s[90:91]                                   // 00000000B780: BEFE015A
	buffer_store_dwordx4 v[180:183], v10, s[40:43], 0 idxen    // 00000000B784: E07C2000 800AB40A
	s_mov_b64 exec, s[86:87]                                   // 00000000B78C: BEFE0156
	v_add_u32_e32 v10, s46, v10                                // 00000000B790: 6814142E
	s_mul_i32 s60, 12, s46                                     // 00000000B794: 923C2E8C
	v_add_u32_e32 v10, s60, v10                                // 00000000B798: 6814143C
	s_cmp_ge_i32 2, s73                                        // 00000000B79C: BF034982
	s_cbranch_scc1 label_1FF4                                  // 00000000B7A0: BF85018B
	v_mov_b32_e32 v30, v216                                    // 00000000B7A4: 7E3C03D8
	v_mov_b32_e32 v31, v217                                    // 00000000B7A8: 7E3E03D9
	v_cmp_u_f32_e64 s[74:75], v30, v30                         // 00000000B7AC: D048004A 00023D1E
	v_bfe_u32 v248, v30, 16, 1                                 // 00000000B7B4: D1C800F8 0205211E
	v_add3_u32 v248, v30, v248, v251                           // 00000000B7BC: D1FF00F8 07EFF11E
	v_cndmask_b32_e64 v28, v248, v250, s[74:75]                // 00000000B7C4: D100001C 012BF5F8
	v_lshrrev_b32_e32 v28, 16, v28                             // 00000000B7CC: 20383890
	v_cmp_u_f32_e64 s[74:75], v31, v31                         // 00000000B7D0: D048004A 00023F1F
	v_bfe_u32 v248, v31, 16, 1                                 // 00000000B7D8: D1C800F8 0205211F
	v_add3_u32 v248, v31, v248, v251                           // 00000000B7E0: D1FF00F8 07EFF11F
	v_cndmask_b32_e64 v29, v248, v250, s[74:75]                // 00000000B7E8: D100001D 012BF5F8
	v_and_or_b32 v184, v29, v249, v28                          // 00000000B7F0: D20100B8 0473F31D
	v_mov_b32_e32 v30, v218                                    // 00000000B7F8: 7E3C03DA
	v_mov_b32_e32 v31, v219                                    // 00000000B7FC: 7E3E03DB
	v_cmp_u_f32_e64 s[74:75], v30, v30                         // 00000000B800: D048004A 00023D1E
	v_bfe_u32 v248, v30, 16, 1                                 // 00000000B808: D1C800F8 0205211E
	v_add3_u32 v248, v30, v248, v251                           // 00000000B810: D1FF00F8 07EFF11E
	v_cndmask_b32_e64 v28, v248, v250, s[74:75]                // 00000000B818: D100001C 012BF5F8
	v_lshrrev_b32_e32 v28, 16, v28                             // 00000000B820: 20383890
	v_cmp_u_f32_e64 s[74:75], v31, v31                         // 00000000B824: D048004A 00023F1F
	v_bfe_u32 v248, v31, 16, 1                                 // 00000000B82C: D1C800F8 0205211F
	v_add3_u32 v248, v31, v248, v251                           // 00000000B834: D1FF00F8 07EFF11F
	v_cndmask_b32_e64 v29, v248, v250, s[74:75]                // 00000000B83C: D100001D 012BF5F8
	v_and_or_b32 v185, v29, v249, v28                          // 00000000B844: D20100B9 0473F31D
	v_mov_b32_e32 v30, v220                                    // 00000000B84C: 7E3C03DC
	v_mov_b32_e32 v31, v221                                    // 00000000B850: 7E3E03DD
	v_cmp_u_f32_e64 s[74:75], v30, v30                         // 00000000B854: D048004A 00023D1E
	v_bfe_u32 v248, v30, 16, 1                                 // 00000000B85C: D1C800F8 0205211E
	v_add3_u32 v248, v30, v248, v251                           // 00000000B864: D1FF00F8 07EFF11E
	v_cndmask_b32_e64 v28, v248, v250, s[74:75]                // 00000000B86C: D100001C 012BF5F8
	v_lshrrev_b32_e32 v28, 16, v28                             // 00000000B874: 20383890
	v_cmp_u_f32_e64 s[74:75], v31, v31                         // 00000000B878: D048004A 00023F1F
	v_bfe_u32 v248, v31, 16, 1                                 // 00000000B880: D1C800F8 0205211F
	v_add3_u32 v248, v31, v248, v251                           // 00000000B888: D1FF00F8 07EFF11F
	v_cndmask_b32_e64 v29, v248, v250, s[74:75]                // 00000000B890: D100001D 012BF5F8
	v_and_or_b32 v186, v29, v249, v28                          // 00000000B898: D20100BA 0473F31D
	v_mov_b32_e32 v30, v222                                    // 00000000B8A0: 7E3C03DE
	v_mov_b32_e32 v31, v223                                    // 00000000B8A4: 7E3E03DF
	v_cmp_u_f32_e64 s[74:75], v30, v30                         // 00000000B8A8: D048004A 00023D1E
	v_bfe_u32 v248, v30, 16, 1                                 // 00000000B8B0: D1C800F8 0205211E
	v_add3_u32 v248, v30, v248, v251                           // 00000000B8B8: D1FF00F8 07EFF11E
	v_cndmask_b32_e64 v28, v248, v250, s[74:75]                // 00000000B8C0: D100001C 012BF5F8
	v_lshrrev_b32_e32 v28, 16, v28                             // 00000000B8C8: 20383890
	v_cmp_u_f32_e64 s[74:75], v31, v31                         // 00000000B8CC: D048004A 00023F1F
	v_bfe_u32 v248, v31, 16, 1                                 // 00000000B8D4: D1C800F8 0205211F
	v_add3_u32 v248, v31, v248, v251                           // 00000000B8DC: D1FF00F8 07EFF11F
	v_cndmask_b32_e64 v29, v248, v250, s[74:75]                // 00000000B8E4: D100001D 012BF5F8
	v_and_or_b32 v187, v29, v249, v28                          // 00000000B8EC: D20100BB 0473F31D
	v_mov_b32_e32 v30, v224                                    // 00000000B8F4: 7E3C03E0
	v_mov_b32_e32 v31, v225                                    // 00000000B8F8: 7E3E03E1
	v_cmp_u_f32_e64 s[74:75], v30, v30                         // 00000000B8FC: D048004A 00023D1E
	v_bfe_u32 v248, v30, 16, 1                                 // 00000000B904: D1C800F8 0205211E
	v_add3_u32 v248, v30, v248, v251                           // 00000000B90C: D1FF00F8 07EFF11E
	v_cndmask_b32_e64 v28, v248, v250, s[74:75]                // 00000000B914: D100001C 012BF5F8
	v_lshrrev_b32_e32 v28, 16, v28                             // 00000000B91C: 20383890
	v_cmp_u_f32_e64 s[74:75], v31, v31                         // 00000000B920: D048004A 00023F1F
	v_bfe_u32 v248, v31, 16, 1                                 // 00000000B928: D1C800F8 0205211F
	v_add3_u32 v248, v31, v248, v251                           // 00000000B930: D1FF00F8 07EFF11F
	v_cndmask_b32_e64 v29, v248, v250, s[74:75]                // 00000000B938: D100001D 012BF5F8
	v_and_or_b32 v188, v29, v249, v28                          // 00000000B940: D20100BC 0473F31D
	v_mov_b32_e32 v30, v226                                    // 00000000B948: 7E3C03E2
	v_mov_b32_e32 v31, v227                                    // 00000000B94C: 7E3E03E3
	v_cmp_u_f32_e64 s[74:75], v30, v30                         // 00000000B950: D048004A 00023D1E
	v_bfe_u32 v248, v30, 16, 1                                 // 00000000B958: D1C800F8 0205211E
	v_add3_u32 v248, v30, v248, v251                           // 00000000B960: D1FF00F8 07EFF11E
	v_cndmask_b32_e64 v28, v248, v250, s[74:75]                // 00000000B968: D100001C 012BF5F8
	v_lshrrev_b32_e32 v28, 16, v28                             // 00000000B970: 20383890
	v_cmp_u_f32_e64 s[74:75], v31, v31                         // 00000000B974: D048004A 00023F1F
	v_bfe_u32 v248, v31, 16, 1                                 // 00000000B97C: D1C800F8 0205211F
	v_add3_u32 v248, v31, v248, v251                           // 00000000B984: D1FF00F8 07EFF11F
	v_cndmask_b32_e64 v29, v248, v250, s[74:75]                // 00000000B98C: D100001D 012BF5F8
	v_and_or_b32 v189, v29, v249, v28                          // 00000000B994: D20100BD 0473F31D
	v_mov_b32_e32 v30, v228                                    // 00000000B99C: 7E3C03E4
	v_mov_b32_e32 v31, v229                                    // 00000000B9A0: 7E3E03E5
	v_cmp_u_f32_e64 s[74:75], v30, v30                         // 00000000B9A4: D048004A 00023D1E
	v_bfe_u32 v248, v30, 16, 1                                 // 00000000B9AC: D1C800F8 0205211E
	v_add3_u32 v248, v30, v248, v251                           // 00000000B9B4: D1FF00F8 07EFF11E
	v_cndmask_b32_e64 v28, v248, v250, s[74:75]                // 00000000B9BC: D100001C 012BF5F8
	v_lshrrev_b32_e32 v28, 16, v28                             // 00000000B9C4: 20383890
	v_cmp_u_f32_e64 s[74:75], v31, v31                         // 00000000B9C8: D048004A 00023F1F
	v_bfe_u32 v248, v31, 16, 1                                 // 00000000B9D0: D1C800F8 0205211F
	v_add3_u32 v248, v31, v248, v251                           // 00000000B9D8: D1FF00F8 07EFF11F
	v_cndmask_b32_e64 v29, v248, v250, s[74:75]                // 00000000B9E0: D100001D 012BF5F8
	v_and_or_b32 v190, v29, v249, v28                          // 00000000B9E8: D20100BE 0473F31D
	v_mov_b32_e32 v30, v230                                    // 00000000B9F0: 7E3C03E6
	v_mov_b32_e32 v31, v231                                    // 00000000B9F4: 7E3E03E7
	v_cmp_u_f32_e64 s[74:75], v30, v30                         // 00000000B9F8: D048004A 00023D1E
	v_bfe_u32 v248, v30, 16, 1                                 // 00000000BA00: D1C800F8 0205211E
	v_add3_u32 v248, v30, v248, v251                           // 00000000BA08: D1FF00F8 07EFF11E
	v_cndmask_b32_e64 v28, v248, v250, s[74:75]                // 00000000BA10: D100001C 012BF5F8
	v_lshrrev_b32_e32 v28, 16, v28                             // 00000000BA18: 20383890
	v_cmp_u_f32_e64 s[74:75], v31, v31                         // 00000000BA1C: D048004A 00023F1F
	v_bfe_u32 v248, v31, 16, 1                                 // 00000000BA24: D1C800F8 0205211F
	v_add3_u32 v248, v31, v248, v251                           // 00000000BA2C: D1FF00F8 07EFF11F
	v_cndmask_b32_e64 v29, v248, v250, s[74:75]                // 00000000BA34: D100001D 012BF5F8
	v_and_or_b32 v191, v29, v249, v28                          // 00000000BA3C: D20100BF 0473F31D
	v_mov_b32_e32 v30, v232                                    // 00000000BA44: 7E3C03E8
	v_mov_b32_e32 v31, v233                                    // 00000000BA48: 7E3E03E9
	v_cmp_u_f32_e64 s[74:75], v30, v30                         // 00000000BA4C: D048004A 00023D1E
	v_bfe_u32 v248, v30, 16, 1                                 // 00000000BA54: D1C800F8 0205211E
	v_add3_u32 v248, v30, v248, v251                           // 00000000BA5C: D1FF00F8 07EFF11E
	v_cndmask_b32_e64 v28, v248, v250, s[74:75]                // 00000000BA64: D100001C 012BF5F8
	v_lshrrev_b32_e32 v28, 16, v28                             // 00000000BA6C: 20383890
	v_cmp_u_f32_e64 s[74:75], v31, v31                         // 00000000BA70: D048004A 00023F1F
	v_bfe_u32 v248, v31, 16, 1                                 // 00000000BA78: D1C800F8 0205211F
	v_add3_u32 v248, v31, v248, v251                           // 00000000BA80: D1FF00F8 07EFF11F
	v_cndmask_b32_e64 v29, v248, v250, s[74:75]                // 00000000BA88: D100001D 012BF5F8
	v_and_or_b32 v192, v29, v249, v28                          // 00000000BA90: D20100C0 0473F31D
	v_mov_b32_e32 v30, v234                                    // 00000000BA98: 7E3C03EA
	v_mov_b32_e32 v31, v235                                    // 00000000BA9C: 7E3E03EB
	v_cmp_u_f32_e64 s[74:75], v30, v30                         // 00000000BAA0: D048004A 00023D1E
	v_bfe_u32 v248, v30, 16, 1                                 // 00000000BAA8: D1C800F8 0205211E
	v_add3_u32 v248, v30, v248, v251                           // 00000000BAB0: D1FF00F8 07EFF11E
	v_cndmask_b32_e64 v28, v248, v250, s[74:75]                // 00000000BAB8: D100001C 012BF5F8
	v_lshrrev_b32_e32 v28, 16, v28                             // 00000000BAC0: 20383890
	v_cmp_u_f32_e64 s[74:75], v31, v31                         // 00000000BAC4: D048004A 00023F1F
	v_bfe_u32 v248, v31, 16, 1                                 // 00000000BACC: D1C800F8 0205211F
	v_add3_u32 v248, v31, v248, v251                           // 00000000BAD4: D1FF00F8 07EFF11F
	v_cndmask_b32_e64 v29, v248, v250, s[74:75]                // 00000000BADC: D100001D 012BF5F8
	v_and_or_b32 v193, v29, v249, v28                          // 00000000BAE4: D20100C1 0473F31D
	v_mov_b32_e32 v30, v236                                    // 00000000BAEC: 7E3C03EC
	v_mov_b32_e32 v31, v237                                    // 00000000BAF0: 7E3E03ED
	v_cmp_u_f32_e64 s[74:75], v30, v30                         // 00000000BAF4: D048004A 00023D1E
	v_bfe_u32 v248, v30, 16, 1                                 // 00000000BAFC: D1C800F8 0205211E
	v_add3_u32 v248, v30, v248, v251                           // 00000000BB04: D1FF00F8 07EFF11E
	v_cndmask_b32_e64 v28, v248, v250, s[74:75]                // 00000000BB0C: D100001C 012BF5F8
	v_lshrrev_b32_e32 v28, 16, v28                             // 00000000BB14: 20383890
	v_cmp_u_f32_e64 s[74:75], v31, v31                         // 00000000BB18: D048004A 00023F1F
	v_bfe_u32 v248, v31, 16, 1                                 // 00000000BB20: D1C800F8 0205211F
	v_add3_u32 v248, v31, v248, v251                           // 00000000BB28: D1FF00F8 07EFF11F
	v_cndmask_b32_e64 v29, v248, v250, s[74:75]                // 00000000BB30: D100001D 012BF5F8
	v_and_or_b32 v194, v29, v249, v28                          // 00000000BB38: D20100C2 0473F31D
	v_mov_b32_e32 v30, v238                                    // 00000000BB40: 7E3C03EE
	v_mov_b32_e32 v31, v239                                    // 00000000BB44: 7E3E03EF
	v_cmp_u_f32_e64 s[74:75], v30, v30                         // 00000000BB48: D048004A 00023D1E
	v_bfe_u32 v248, v30, 16, 1                                 // 00000000BB50: D1C800F8 0205211E
	v_add3_u32 v248, v30, v248, v251                           // 00000000BB58: D1FF00F8 07EFF11E
	v_cndmask_b32_e64 v28, v248, v250, s[74:75]                // 00000000BB60: D100001C 012BF5F8
	v_lshrrev_b32_e32 v28, 16, v28                             // 00000000BB68: 20383890
	v_cmp_u_f32_e64 s[74:75], v31, v31                         // 00000000BB6C: D048004A 00023F1F
	v_bfe_u32 v248, v31, 16, 1                                 // 00000000BB74: D1C800F8 0205211F
	v_add3_u32 v248, v31, v248, v251                           // 00000000BB7C: D1FF00F8 07EFF11F
	v_cndmask_b32_e64 v29, v248, v250, s[74:75]                // 00000000BB84: D100001D 012BF5F8
	v_and_or_b32 v195, v29, v249, v28                          // 00000000BB8C: D20100C3 0473F31D
	v_mov_b32_e32 v30, v240                                    // 00000000BB94: 7E3C03F0
	v_mov_b32_e32 v31, v241                                    // 00000000BB98: 7E3E03F1
	v_cmp_u_f32_e64 s[74:75], v30, v30                         // 00000000BB9C: D048004A 00023D1E
	v_bfe_u32 v248, v30, 16, 1                                 // 00000000BBA4: D1C800F8 0205211E
	v_add3_u32 v248, v30, v248, v251                           // 00000000BBAC: D1FF00F8 07EFF11E
	v_cndmask_b32_e64 v28, v248, v250, s[74:75]                // 00000000BBB4: D100001C 012BF5F8
	v_lshrrev_b32_e32 v28, 16, v28                             // 00000000BBBC: 20383890
	v_cmp_u_f32_e64 s[74:75], v31, v31                         // 00000000BBC0: D048004A 00023F1F
	v_bfe_u32 v248, v31, 16, 1                                 // 00000000BBC8: D1C800F8 0205211F
	v_add3_u32 v248, v31, v248, v251                           // 00000000BBD0: D1FF00F8 07EFF11F
	v_cndmask_b32_e64 v29, v248, v250, s[74:75]                // 00000000BBD8: D100001D 012BF5F8
	v_and_or_b32 v196, v29, v249, v28                          // 00000000BBE0: D20100C4 0473F31D
	v_mov_b32_e32 v30, v242                                    // 00000000BBE8: 7E3C03F2
	v_mov_b32_e32 v31, v243                                    // 00000000BBEC: 7E3E03F3
	v_cmp_u_f32_e64 s[74:75], v30, v30                         // 00000000BBF0: D048004A 00023D1E
	v_bfe_u32 v248, v30, 16, 1                                 // 00000000BBF8: D1C800F8 0205211E
	v_add3_u32 v248, v30, v248, v251                           // 00000000BC00: D1FF00F8 07EFF11E
	v_cndmask_b32_e64 v28, v248, v250, s[74:75]                // 00000000BC08: D100001C 012BF5F8
	v_lshrrev_b32_e32 v28, 16, v28                             // 00000000BC10: 20383890
	v_cmp_u_f32_e64 s[74:75], v31, v31                         // 00000000BC14: D048004A 00023F1F
	v_bfe_u32 v248, v31, 16, 1                                 // 00000000BC1C: D1C800F8 0205211F
	v_add3_u32 v248, v31, v248, v251                           // 00000000BC24: D1FF00F8 07EFF11F
	v_cndmask_b32_e64 v29, v248, v250, s[74:75]                // 00000000BC2C: D100001D 012BF5F8
	v_and_or_b32 v197, v29, v249, v28                          // 00000000BC34: D20100C5 0473F31D
	v_mov_b32_e32 v30, v244                                    // 00000000BC3C: 7E3C03F4
	v_mov_b32_e32 v31, v245                                    // 00000000BC40: 7E3E03F5
	v_cmp_u_f32_e64 s[74:75], v30, v30                         // 00000000BC44: D048004A 00023D1E
	v_bfe_u32 v248, v30, 16, 1                                 // 00000000BC4C: D1C800F8 0205211E
	v_add3_u32 v248, v30, v248, v251                           // 00000000BC54: D1FF00F8 07EFF11E
	v_cndmask_b32_e64 v28, v248, v250, s[74:75]                // 00000000BC5C: D100001C 012BF5F8
	v_lshrrev_b32_e32 v28, 16, v28                             // 00000000BC64: 20383890
	v_cmp_u_f32_e64 s[74:75], v31, v31                         // 00000000BC68: D048004A 00023F1F
	v_bfe_u32 v248, v31, 16, 1                                 // 00000000BC70: D1C800F8 0205211F
	v_add3_u32 v248, v31, v248, v251                           // 00000000BC78: D1FF00F8 07EFF11F
	v_cndmask_b32_e64 v29, v248, v250, s[74:75]                // 00000000BC80: D100001D 012BF5F8
	v_and_or_b32 v198, v29, v249, v28                          // 00000000BC88: D20100C6 0473F31D
	v_mov_b32_e32 v30, v246                                    // 00000000BC90: 7E3C03F6
	v_mov_b32_e32 v31, v247                                    // 00000000BC94: 7E3E03F7
	v_cmp_u_f32_e64 s[74:75], v30, v30                         // 00000000BC98: D048004A 00023D1E
	v_bfe_u32 v248, v30, 16, 1                                 // 00000000BCA0: D1C800F8 0205211E
	v_add3_u32 v248, v30, v248, v251                           // 00000000BCA8: D1FF00F8 07EFF11E
	v_cndmask_b32_e64 v28, v248, v250, s[74:75]                // 00000000BCB0: D100001C 012BF5F8
	v_lshrrev_b32_e32 v28, 16, v28                             // 00000000BCB8: 20383890
	v_cmp_u_f32_e64 s[74:75], v31, v31                         // 00000000BCBC: D048004A 00023F1F
	v_bfe_u32 v248, v31, 16, 1                                 // 00000000BCC4: D1C800F8 0205211F
	v_add3_u32 v248, v31, v248, v251                           // 00000000BCCC: D1FF00F8 07EFF11F
	v_cndmask_b32_e64 v29, v248, v250, s[74:75]                // 00000000BCD4: D100001D 012BF5F8
	v_and_or_b32 v199, v29, v249, v28                          // 00000000BCDC: D20100C7 0473F31D
	ds_write_b64 v27, v[184:185] offset:33792                  // 00000000BCE4: D89A8400 0000B81B
	ds_write_b64 v27, v[186:187] offset:34320                  // 00000000BCEC: D89A8610 0000BA1B
	ds_write_b64 v27, v[188:189] offset:34848                  // 00000000BCF4: D89A8820 0000BC1B
	ds_write_b64 v27, v[190:191] offset:35376                  // 00000000BCFC: D89A8A30 0000BE1B
	ds_write_b64 v27, v[192:193] offset:35904                  // 00000000BD04: D89A8C40 0000C01B
	ds_write_b64 v27, v[194:195] offset:36432                  // 00000000BD0C: D89A8E50 0000C21B
	ds_write_b64 v27, v[196:197] offset:36960                  // 00000000BD14: D89A9060 0000C41B
	ds_write_b64 v27, v[198:199] offset:37488                  // 00000000BD1C: D89A9270 0000C61B
	s_waitcnt lgkmcnt(0)                                       // 00000000BD24: BF8CC07F
	s_barrier                                                  // 00000000BD28: BF8A0000
	ds_read_b64 v[184:185], v26 offset:33792                   // 00000000BD2C: D8EC8400 B800001A
	ds_read_b64 v[186:187], v26 offset:33920                   // 00000000BD34: D8EC8480 BA00001A
	ds_read_b64 v[188:189], v26 offset:33824                   // 00000000BD3C: D8EC8420 BC00001A
	ds_read_b64 v[190:191], v26 offset:33952                   // 00000000BD44: D8EC84A0 BE00001A
	ds_read_b64 v[192:193], v26 offset:33856                   // 00000000BD4C: D8EC8440 C000001A
	ds_read_b64 v[194:195], v26 offset:33984                   // 00000000BD54: D8EC84C0 C200001A
	ds_read_b64 v[196:197], v26 offset:33888                   // 00000000BD5C: D8EC8460 C400001A
	ds_read_b64 v[198:199], v26 offset:34016                   // 00000000BD64: D8EC84E0 C600001A
	s_waitcnt lgkmcnt(0)                                       // 00000000BD6C: BF8CC07F
	s_mov_b64 exec, s[90:91]                                   // 00000000BD70: BEFE015A
	buffer_store_dwordx4 v[184:187], v10, s[40:43], 0 idxen    // 00000000BD74: E07C2000 800AB80A
	s_mov_b64 exec, s[86:87]                                   // 00000000BD7C: BEFE0156
	v_add_u32_e32 v10, s46, v10                                // 00000000BD80: 6814142E
	s_mov_b64 exec, s[90:91]                                   // 00000000BD84: BEFE015A
	buffer_store_dwordx4 v[188:191], v10, s[40:43], 0 idxen    // 00000000BD88: E07C2000 800ABC0A
	s_mov_b64 exec, s[86:87]                                   // 00000000BD90: BEFE0156
	v_add_u32_e32 v10, s46, v10                                // 00000000BD94: 6814142E
	s_mov_b64 exec, s[90:91]                                   // 00000000BD98: BEFE015A
	buffer_store_dwordx4 v[192:195], v10, s[40:43], 0 idxen    // 00000000BD9C: E07C2000 800AC00A
	s_mov_b64 exec, s[86:87]                                   // 00000000BDA4: BEFE0156
	v_add_u32_e32 v10, s46, v10                                // 00000000BDA8: 6814142E
	s_mov_b64 exec, s[90:91]                                   // 00000000BDAC: BEFE015A
	buffer_store_dwordx4 v[196:199], v10, s[40:43], 0 idxen    // 00000000BDB0: E07C2000 800AC40A
	s_mov_b64 exec, s[86:87]                                   // 00000000BDB8: BEFE0156
	v_add_u32_e32 v10, s46, v10                                // 00000000BDBC: 6814142E
	s_mul_i32 s60, 12, s46                                     // 00000000BDC0: 923C2E8C
	v_add_u32_e32 v10, s60, v10                                // 00000000BDC4: 6814143C
	s_cmp_ge_i32 3, s73                                        // 00000000BDC8: BF034983
	s_cbranch_scc1 label_1FF4                                  // 00000000BDCC: BF850000

000000000000bdd0 <label_1FF4>:
	s_waitcnt vmcnt(0) expcnt(0) lgkmcnt(0)                    // 00000000BDD0: BF8C0000
	s_endpgm                                                   // 00000000BDD4: BF810000
